;; amdgpu-corpus repo=ROCm/rocFFT kind=compiled arch=gfx906 opt=O3
	.text
	.amdgcn_target "amdgcn-amd-amdhsa--gfx906"
	.amdhsa_code_object_version 6
	.protected	bluestein_single_back_len1400_dim1_half_op_CI_CI ; -- Begin function bluestein_single_back_len1400_dim1_half_op_CI_CI
	.globl	bluestein_single_back_len1400_dim1_half_op_CI_CI
	.p2align	8
	.type	bluestein_single_back_len1400_dim1_half_op_CI_CI,@function
bluestein_single_back_len1400_dim1_half_op_CI_CI: ; @bluestein_single_back_len1400_dim1_half_op_CI_CI
; %bb.0:
	s_load_dwordx4 s[12:15], s[4:5], 0x28
	v_mul_u32_u24_e32 v1, 0x493, v0
	v_add_u32_sdwa v42, s6, v1 dst_sel:DWORD dst_unused:UNUSED_PAD src0_sel:DWORD src1_sel:WORD_1
	v_mov_b32_e32 v43, 0
	s_waitcnt lgkmcnt(0)
	v_cmp_gt_u64_e32 vcc, s[12:13], v[42:43]
	s_and_saveexec_b64 s[0:1], vcc
	s_cbranch_execz .LBB0_39
; %bb.1:
	s_load_dwordx4 s[8:11], s[4:5], 0x18
	s_load_dwordx2 s[12:13], s[4:5], 0x0
	v_mov_b32_e32 v2, 56
	v_mul_lo_u16_sdwa v1, v1, v2 dst_sel:DWORD dst_unused:UNUSED_PAD src0_sel:WORD_1 src1_sel:DWORD
	v_sub_u16_e32 v101, v0, v1
	s_waitcnt lgkmcnt(0)
	s_load_dwordx4 s[0:3], s[8:9], 0x0
	v_lshlrev_b32_e32 v77, 2, v101
	global_load_dword v103, v77, s[12:13]
	v_mov_b32_e32 v16, s13
	s_movk_i32 s16, 0x1000
	s_waitcnt lgkmcnt(0)
	v_mad_u64_u32 v[0:1], s[6:7], s2, v42, 0
	v_mad_u64_u32 v[2:3], s[6:7], s0, v101, 0
	s_mul_hi_u32 s7, s0, 0xfffffd7c
	s_mul_i32 s6, s1, 0xfffffd7c
	v_mad_u64_u32 v[4:5], s[2:3], s3, v42, v[1:2]
	s_sub_i32 s7, s7, s0
	s_add_i32 s7, s7, s6
	v_mad_u64_u32 v[5:6], s[2:3], s1, v101, v[3:4]
	v_mov_b32_e32 v1, v4
	v_lshlrev_b64 v[0:1], 2, v[0:1]
	v_mov_b32_e32 v6, s15
	v_mov_b32_e32 v3, v5
	v_add_co_u32_e32 v9, vcc, s14, v0
	v_addc_co_u32_e32 v10, vcc, v6, v1, vcc
	v_lshlrev_b64 v[0:1], 2, v[2:3]
	s_mul_i32 s2, s1, 0x2bc
	v_add_co_u32_e32 v0, vcc, v9, v0
	v_addc_co_u32_e32 v1, vcc, v10, v1, vcc
	s_mul_hi_u32 s3, s0, 0x2bc
	global_load_dword v2, v[0:1], off
	s_add_i32 s3, s3, s2
	s_mul_i32 s2, s0, 0x2bc
	s_lshl_b64 s[2:3], s[2:3], 2
	v_mov_b32_e32 v11, s3
	v_add_co_u32_e32 v0, vcc, s2, v0
	v_addc_co_u32_e32 v1, vcc, v1, v11, vcc
	global_load_dword v3, v[0:1], off
	global_load_dword v102, v77, s[12:13] offset:2800
	s_mul_i32 s6, s0, 0xfffffd7c
	s_lshl_b64 s[14:15], s[6:7], 2
	v_mov_b32_e32 v12, s15
	v_add_co_u32_e32 v0, vcc, s14, v0
	v_addc_co_u32_e32 v1, vcc, v1, v12, vcc
	global_load_dword v4, v[0:1], off
	global_load_dword v100, v77, s[12:13] offset:224
	v_add_co_u32_e32 v0, vcc, s2, v0
	v_addc_co_u32_e32 v1, vcc, v1, v11, vcc
	global_load_dword v5, v[0:1], off
	global_load_dword v99, v77, s[12:13] offset:3024
	;; [unrolled: 4-line block ×8, first 2 shown]
	v_add_co_u32_e32 v40, vcc, s12, v77
	v_addc_co_u32_e32 v41, vcc, 0, v16, vcc
	v_add_co_u32_e32 v0, vcc, s14, v0
	v_addc_co_u32_e32 v1, vcc, v1, v12, vcc
	s_load_dwordx4 s[8:11], s[10:11], 0x0
	global_load_dword v16, v[0:1], off
	global_load_dword v91, v77, s[12:13] offset:1120
	global_load_dword v89, v77, s[12:13] offset:1344
	;; [unrolled: 1-line block ×7, first 2 shown]
	v_add_co_u32_e32 v0, vcc, s2, v0
	v_addc_co_u32_e32 v1, vcc, v1, v11, vcc
	global_load_dword v93, v77, s[12:13] offset:3920
	v_or_b32_e32 v86, 0x1c0, v101
	s_load_dwordx2 s[6:7], s[4:5], 0x38
	v_add_u32_e32 v22, 0x800, v77
	s_waitcnt vmcnt(27)
	v_lshrrev_b32_e32 v17, 16, v2
	v_mul_f16_sdwa v18, v103, v17 dst_sel:DWORD dst_unused:UNUSED_PAD src0_sel:WORD_1 src1_sel:DWORD
	v_fma_f16 v18, v103, v2, v18
	v_mul_f16_sdwa v2, v103, v2 dst_sel:DWORD dst_unused:UNUSED_PAD src0_sel:WORD_1 src1_sel:DWORD
	v_fma_f16 v2, v103, v17, -v2
	v_pack_b32_f16 v2, v18, v2
	s_waitcnt vmcnt(26)
	v_lshrrev_b32_e32 v17, 16, v3
	s_waitcnt vmcnt(25)
	v_mul_f16_sdwa v18, v102, v17 dst_sel:DWORD dst_unused:UNUSED_PAD src0_sel:WORD_1 src1_sel:DWORD
	v_fma_f16 v18, v102, v3, v18
	v_mul_f16_sdwa v3, v102, v3 dst_sel:DWORD dst_unused:UNUSED_PAD src0_sel:WORD_1 src1_sel:DWORD
	v_fma_f16 v3, v102, v17, -v3
	v_pack_b32_f16 v3, v18, v3
	ds_write_b32 v77, v3 offset:2800
	s_waitcnt vmcnt(24)
	v_lshrrev_b32_e32 v3, 16, v4
	s_waitcnt vmcnt(23)
	v_mul_f16_sdwa v17, v100, v3 dst_sel:DWORD dst_unused:UNUSED_PAD src0_sel:WORD_1 src1_sel:DWORD
	v_fma_f16 v17, v100, v4, v17
	v_mul_f16_sdwa v4, v100, v4 dst_sel:DWORD dst_unused:UNUSED_PAD src0_sel:WORD_1 src1_sel:DWORD
	v_fma_f16 v3, v100, v3, -v4
	v_pack_b32_f16 v3, v17, v3
	ds_write2_b32 v77, v2, v3 offset1:56
	s_waitcnt vmcnt(22)
	v_lshrrev_b32_e32 v2, 16, v5
	s_waitcnt vmcnt(21)
	v_mul_f16_sdwa v3, v99, v2 dst_sel:DWORD dst_unused:UNUSED_PAD src0_sel:WORD_1 src1_sel:DWORD
	v_mul_f16_sdwa v4, v99, v5 dst_sel:DWORD dst_unused:UNUSED_PAD src0_sel:WORD_1 src1_sel:DWORD
	v_fma_f16 v3, v99, v5, v3
	v_fma_f16 v2, v99, v2, -v4
	v_pack_b32_f16 v2, v3, v2
	s_waitcnt vmcnt(20)
	v_lshrrev_b32_e32 v3, 16, v6
	s_waitcnt vmcnt(19)
	v_mul_f16_sdwa v4, v98, v3 dst_sel:DWORD dst_unused:UNUSED_PAD src0_sel:WORD_1 src1_sel:DWORD
	v_mul_f16_sdwa v5, v98, v6 dst_sel:DWORD dst_unused:UNUSED_PAD src0_sel:WORD_1 src1_sel:DWORD
	v_fma_f16 v4, v98, v6, v4
	v_fma_f16 v3, v98, v3, -v5
	v_pack_b32_f16 v3, v4, v3
	;; [unrolled: 8-line block ×3, first 2 shown]
	v_add_u32_e32 v5, 0xa00, v77
	ds_write2_b32 v5, v2, v4 offset0:116 offset1:172
	s_waitcnt vmcnt(16)
	v_lshrrev_b32_e32 v2, 16, v8
	s_waitcnt vmcnt(15)
	v_mul_f16_sdwa v4, v96, v2 dst_sel:DWORD dst_unused:UNUSED_PAD src0_sel:WORD_1 src1_sel:DWORD
	v_mul_f16_sdwa v5, v96, v8 dst_sel:DWORD dst_unused:UNUSED_PAD src0_sel:WORD_1 src1_sel:DWORD
	v_fma_f16 v4, v96, v8, v4
	v_fma_f16 v2, v96, v2, -v5
	v_pack_b32_f16 v2, v4, v2
	ds_write2_b32 v77, v3, v2 offset0:112 offset1:168
	s_waitcnt vmcnt(14)
	v_lshrrev_b32_e32 v2, 16, v13
	s_waitcnt vmcnt(13)
	v_mul_f16_sdwa v3, v95, v2 dst_sel:DWORD dst_unused:UNUSED_PAD src0_sel:WORD_1 src1_sel:DWORD
	v_mul_f16_sdwa v4, v95, v13 dst_sel:DWORD dst_unused:UNUSED_PAD src0_sel:WORD_1 src1_sel:DWORD
	v_fma_f16 v3, v95, v13, v3
	v_fma_f16 v2, v95, v2, -v4
	v_pack_b32_f16 v3, v3, v2
	s_waitcnt vmcnt(12)
	v_lshrrev_b32_e32 v2, 16, v14
	s_waitcnt vmcnt(11)
	v_mul_f16_sdwa v4, v94, v2 dst_sel:DWORD dst_unused:UNUSED_PAD src0_sel:WORD_1 src1_sel:DWORD
	v_mul_f16_sdwa v5, v94, v14 dst_sel:DWORD dst_unused:UNUSED_PAD src0_sel:WORD_1 src1_sel:DWORD
	v_fma_f16 v4, v94, v14, v4
	v_fma_f16 v2, v94, v2, -v5
	v_pack_b32_f16 v13, v4, v2
	s_waitcnt vmcnt(10)
	v_lshrrev_b32_e32 v2, 16, v15
	global_load_dword v14, v[0:1], off
	v_add_co_u32_e32 v0, vcc, s14, v0
	s_waitcnt vmcnt(10)
	v_mul_f16_sdwa v4, v92, v2 dst_sel:DWORD dst_unused:UNUSED_PAD src0_sel:WORD_1 src1_sel:DWORD
	v_mul_f16_sdwa v5, v92, v15 dst_sel:DWORD dst_unused:UNUSED_PAD src0_sel:WORD_1 src1_sel:DWORD
	v_addc_co_u32_e32 v1, vcc, v1, v12, vcc
	v_fma_f16 v4, v92, v15, v4
	v_fma_f16 v2, v92, v2, -v5
	global_load_dword v17, v[0:1], off
	v_add_co_u32_e32 v0, vcc, s2, v0
	v_pack_b32_f16 v4, v4, v2
	v_add_u32_e32 v2, 0xc00, v77
	v_addc_co_u32_e32 v1, vcc, v1, v11, vcc
	ds_write2_b32 v2, v3, v4 offset0:100 offset1:156
	v_add_co_u32_e32 v4, vcc, s16, v40
	v_mad_u64_u32 v[6:7], s[16:17], s0, v86, 0
	global_load_dword v18, v[0:1], off
	v_addc_co_u32_e32 v5, vcc, 0, v41, vcc
	global_load_dword v90, v[4:5], off offset:48
	v_add_co_u32_e32 v0, vcc, s14, v0
	v_mov_b32_e32 v3, v7
	v_addc_co_u32_e32 v1, vcc, v1, v12, vcc
	v_mad_u64_u32 v[7:8], s[16:17], s1, v86, v[3:4]
	global_load_dword v19, v[0:1], off
	v_add_co_u32_e32 v0, vcc, s2, v0
	v_lshlrev_b64 v[6:7], 2, v[6:7]
	v_addc_co_u32_e32 v1, vcc, v1, v11, vcc
	global_load_dword v8, v[0:1], off
	global_load_dword v88, v[4:5], off offset:272
	v_add_co_u32_e32 v6, vcc, v9, v6
	v_mov_b32_e32 v3, 0xe0
	v_addc_co_u32_e32 v7, vcc, v10, v7, vcc
	v_mad_u64_u32 v[0:1], s[16:17], s0, v3, v[0:1]
	global_load_dword v6, v[6:7], off
	s_mul_i32 s0, s1, 0xe0
	v_add_u32_e32 v1, s0, v1
	global_load_dword v7, v[0:1], off
	global_load_dword v85, v[4:5], off offset:496
	v_add_co_u32_e32 v0, vcc, s14, v0
	v_addc_co_u32_e32 v1, vcc, v1, v12, vcc
	global_load_dword v10, v[0:1], off
	v_add_co_u32_e32 v0, vcc, s2, v0
	s_waitcnt vmcnt(19)
	v_lshrrev_b32_e32 v15, 16, v16
	s_waitcnt vmcnt(18)
	v_mul_f16_sdwa v9, v91, v16 dst_sel:DWORD dst_unused:UNUSED_PAD src0_sel:WORD_1 src1_sel:DWORD
	v_addc_co_u32_e32 v1, vcc, v1, v11, vcc
	v_mul_f16_sdwa v3, v91, v15 dst_sel:DWORD dst_unused:UNUSED_PAD src0_sel:WORD_1 src1_sel:DWORD
	v_fma_f16 v9, v91, v15, -v9
	global_load_dword v15, v[0:1], off
	global_load_dword v83, v[4:5], off offset:720
	v_add_co_u32_e32 v0, vcc, s14, v0
	v_addc_co_u32_e32 v1, vcc, v1, v12, vcc
	v_fma_f16 v3, v91, v16, v3
	global_load_dword v16, v[0:1], off
	v_pack_b32_f16 v9, v3, v9
	v_add_u32_e32 v3, 0x200, v77
	v_add_co_u32_e32 v0, vcc, s2, v0
	ds_write2_b32 v3, v13, v9 offset0:96 offset1:152
	v_addc_co_u32_e32 v1, vcc, v1, v11, vcc
	global_load_dword v9, v[0:1], off
	global_load_dword v81, v[4:5], off offset:944
	v_add_co_u32_e32 v0, vcc, s14, v0
	v_addc_co_u32_e32 v1, vcc, v1, v12, vcc
	global_load_dword v12, v[0:1], off
	v_add_co_u32_e32 v0, vcc, s2, v0
	v_addc_co_u32_e32 v1, vcc, v1, v11, vcc
	global_load_dword v11, v[0:1], off
	global_load_dword v79, v[4:5], off offset:1168
	s_waitcnt vmcnt(18)
	v_lshrrev_b32_e32 v13, 16, v14
	v_mul_f16_sdwa v20, v93, v13 dst_sel:DWORD dst_unused:UNUSED_PAD src0_sel:WORD_1 src1_sel:DWORD
	v_fma_f16 v20, v93, v14, v20
	v_mul_f16_sdwa v14, v93, v14 dst_sel:DWORD dst_unused:UNUSED_PAD src0_sel:WORD_1 src1_sel:DWORD
	s_waitcnt vmcnt(17)
	v_lshrrev_b32_e32 v5, 16, v17
	v_fma_f16 v4, v93, v13, -v14
	v_mul_f16_sdwa v13, v89, v5 dst_sel:DWORD dst_unused:UNUSED_PAD src0_sel:WORD_1 src1_sel:DWORD
	v_mul_f16_sdwa v14, v89, v17 dst_sel:DWORD dst_unused:UNUSED_PAD src0_sel:WORD_1 src1_sel:DWORD
	v_fma_f16 v13, v89, v17, v13
	v_fma_f16 v5, v89, v5, -v14
	v_pack_b32_f16 v5, v13, v5
	v_pack_b32_f16 v4, v20, v4
	v_add_u32_e32 v20, 0x1000, v77
	s_waitcnt vmcnt(16)
	v_lshrrev_b32_e32 v13, 16, v18
	v_cmp_gt_u16_e64 s[0:1], 28, v101
	s_waitcnt vmcnt(15)
	v_mul_f16_sdwa v14, v90, v13 dst_sel:DWORD dst_unused:UNUSED_PAD src0_sel:WORD_1 src1_sel:DWORD
	v_mul_f16_sdwa v17, v90, v18 dst_sel:DWORD dst_unused:UNUSED_PAD src0_sel:WORD_1 src1_sel:DWORD
	v_fma_f16 v14, v90, v18, v14
	v_fma_f16 v13, v90, v13, -v17
	v_pack_b32_f16 v13, v14, v13
	v_add_u32_e32 v14, 0xe00, v77
	ds_write2_b32 v14, v4, v13 offset0:84 offset1:140
	s_waitcnt vmcnt(14)
	v_lshrrev_b32_e32 v4, 16, v19
	v_mul_f16_sdwa v13, v87, v4 dst_sel:DWORD dst_unused:UNUSED_PAD src0_sel:WORD_1 src1_sel:DWORD
	v_mul_f16_sdwa v14, v87, v19 dst_sel:DWORD dst_unused:UNUSED_PAD src0_sel:WORD_1 src1_sel:DWORD
	v_fma_f16 v13, v87, v19, v13
	v_fma_f16 v4, v87, v4, -v14
	v_pack_b32_f16 v13, v13, v4
	v_add_u32_e32 v4, 0x400, v77
	ds_write2_b32 v4, v5, v13 offset0:80 offset1:136
	s_waitcnt vmcnt(13)
	v_lshrrev_b32_e32 v5, 16, v8
	s_waitcnt vmcnt(12)
	v_mul_f16_sdwa v13, v88, v5 dst_sel:DWORD dst_unused:UNUSED_PAD src0_sel:WORD_1 src1_sel:DWORD
	v_fma_f16 v13, v88, v8, v13
	v_mul_f16_sdwa v8, v88, v8 dst_sel:DWORD dst_unused:UNUSED_PAD src0_sel:WORD_1 src1_sel:DWORD
	v_fma_f16 v5, v88, v5, -v8
	v_pack_b32_f16 v5, v13, v5
	s_waitcnt vmcnt(11)
	v_lshrrev_b32_e32 v8, 16, v6
	v_mul_f16_sdwa v13, v84, v8 dst_sel:DWORD dst_unused:UNUSED_PAD src0_sel:WORD_1 src1_sel:DWORD
	v_fma_f16 v13, v84, v6, v13
	v_mul_f16_sdwa v6, v84, v6 dst_sel:DWORD dst_unused:UNUSED_PAD src0_sel:WORD_1 src1_sel:DWORD
	v_fma_f16 v6, v84, v8, -v6
	s_waitcnt vmcnt(10)
	v_lshrrev_b32_e32 v8, 16, v7
	v_pack_b32_f16 v6, v13, v6
	s_waitcnt vmcnt(9)
	v_mul_f16_sdwa v13, v85, v8 dst_sel:DWORD dst_unused:UNUSED_PAD src0_sel:WORD_1 src1_sel:DWORD
	v_fma_f16 v13, v85, v7, v13
	v_mul_f16_sdwa v7, v85, v7 dst_sel:DWORD dst_unused:UNUSED_PAD src0_sel:WORD_1 src1_sel:DWORD
	v_fma_f16 v7, v85, v8, -v7
	v_pack_b32_f16 v7, v13, v7
	ds_write2_b32 v20, v5, v7 offset0:68 offset1:124
	s_waitcnt vmcnt(8)
	v_lshrrev_b32_e32 v5, 16, v10
	v_mul_f16_sdwa v7, v82, v5 dst_sel:DWORD dst_unused:UNUSED_PAD src0_sel:WORD_1 src1_sel:DWORD
	v_mul_f16_sdwa v8, v82, v10 dst_sel:DWORD dst_unused:UNUSED_PAD src0_sel:WORD_1 src1_sel:DWORD
	v_fma_f16 v7, v82, v10, v7
	v_fma_f16 v5, v82, v5, -v8
	v_pack_b32_f16 v5, v7, v5
	ds_write2_b32 v4, v6, v5 offset0:192 offset1:248
	s_waitcnt vmcnt(7)
	v_lshrrev_b32_e32 v5, 16, v15
	s_waitcnt vmcnt(6)
	v_mul_f16_sdwa v6, v83, v5 dst_sel:DWORD dst_unused:UNUSED_PAD src0_sel:WORD_1 src1_sel:DWORD
	v_mul_f16_sdwa v7, v83, v15 dst_sel:DWORD dst_unused:UNUSED_PAD src0_sel:WORD_1 src1_sel:DWORD
	v_fma_f16 v6, v83, v15, v6
	v_fma_f16 v5, v83, v5, -v7
	v_pack_b32_f16 v5, v6, v5
	s_waitcnt vmcnt(5)
	v_lshrrev_b32_e32 v6, 16, v16
	v_mul_f16_sdwa v7, v80, v6 dst_sel:DWORD dst_unused:UNUSED_PAD src0_sel:WORD_1 src1_sel:DWORD
	v_mul_f16_sdwa v8, v80, v16 dst_sel:DWORD dst_unused:UNUSED_PAD src0_sel:WORD_1 src1_sel:DWORD
	v_fma_f16 v7, v80, v16, v7
	v_fma_f16 v6, v80, v6, -v8
	v_pack_b32_f16 v6, v7, v6
	s_waitcnt vmcnt(4)
	v_lshrrev_b32_e32 v7, 16, v9
	s_waitcnt vmcnt(3)
	v_mul_f16_sdwa v8, v81, v7 dst_sel:DWORD dst_unused:UNUSED_PAD src0_sel:WORD_1 src1_sel:DWORD
	v_fma_f16 v8, v81, v9, v8
	v_mul_f16_sdwa v9, v81, v9 dst_sel:DWORD dst_unused:UNUSED_PAD src0_sel:WORD_1 src1_sel:DWORD
	v_fma_f16 v7, v81, v7, -v9
	v_pack_b32_f16 v7, v8, v7
	ds_write2_b32 v20, v5, v7 offset0:180 offset1:236
	s_waitcnt vmcnt(2)
	v_lshrrev_b32_e32 v5, 16, v12
	v_mul_f16_sdwa v7, v78, v5 dst_sel:DWORD dst_unused:UNUSED_PAD src0_sel:WORD_1 src1_sel:DWORD
	v_mul_f16_sdwa v8, v78, v12 dst_sel:DWORD dst_unused:UNUSED_PAD src0_sel:WORD_1 src1_sel:DWORD
	v_fma_f16 v7, v78, v12, v7
	v_fma_f16 v5, v78, v5, -v8
	v_pack_b32_f16 v5, v7, v5
	ds_write2_b32 v22, v6, v5 offset0:48 offset1:104
	s_waitcnt vmcnt(1)
	v_lshrrev_b32_e32 v5, 16, v11
	s_waitcnt vmcnt(0)
	v_mul_f16_sdwa v6, v79, v5 dst_sel:DWORD dst_unused:UNUSED_PAD src0_sel:WORD_1 src1_sel:DWORD
	v_mul_f16_sdwa v7, v79, v11 dst_sel:DWORD dst_unused:UNUSED_PAD src0_sel:WORD_1 src1_sel:DWORD
	v_fma_f16 v6, v79, v11, v6
	v_fma_f16 v5, v79, v5, -v7
	v_pack_b32_f16 v5, v6, v5
	ds_write_b32 v77, v5 offset:5264
	s_and_saveexec_b64 s[16:17], s[0:1]
	s_cbranch_execz .LBB0_3
; %bb.2:
	v_mov_b32_e32 v5, s15
	v_add_co_u32_e32 v0, vcc, s14, v0
	v_addc_co_u32_e32 v1, vcc, v1, v5, vcc
	global_load_dword v5, v[0:1], off
	global_load_dword v6, v[40:41], off offset:2688
	v_mov_b32_e32 v7, s3
	v_add_co_u32_e32 v0, vcc, s2, v0
	v_addc_co_u32_e32 v1, vcc, v1, v7, vcc
	global_load_dword v7, v[0:1], off
	v_add_co_u32_e32 v0, vcc, 0x1000, v40
	v_addc_co_u32_e32 v1, vcc, 0, v41, vcc
	global_load_dword v0, v[0:1], off offset:1392
	s_waitcnt vmcnt(3)
	v_lshrrev_b32_e32 v1, 16, v5
	s_waitcnt vmcnt(2)
	v_mul_f16_sdwa v8, v6, v5 dst_sel:DWORD dst_unused:UNUSED_PAD src0_sel:WORD_1 src1_sel:DWORD
	v_mul_f16_sdwa v9, v6, v1 dst_sel:DWORD dst_unused:UNUSED_PAD src0_sel:WORD_1 src1_sel:DWORD
	v_fma_f16 v1, v6, v1, -v8
	v_fma_f16 v5, v6, v5, v9
	v_pack_b32_f16 v1, v5, v1
	ds_write_b32 v77, v1 offset:2688
	s_waitcnt vmcnt(1)
	v_lshrrev_b32_e32 v8, 16, v7
	s_waitcnt vmcnt(0)
	v_mul_f16_sdwa v10, v0, v7 dst_sel:DWORD dst_unused:UNUSED_PAD src0_sel:WORD_1 src1_sel:DWORD
	v_mul_f16_sdwa v6, v0, v8 dst_sel:DWORD dst_unused:UNUSED_PAD src0_sel:WORD_1 src1_sel:DWORD
	v_fma_f16 v8, v0, v8, -v10
	v_fma_f16 v0, v0, v7, v6
	v_pack_b32_f16 v0, v0, v8
	ds_write_b32 v77, v0 offset:5488
.LBB0_3:
	s_or_b64 exec, exec, s[16:17]
	s_waitcnt lgkmcnt(0)
	; wave barrier
	s_waitcnt lgkmcnt(0)
	ds_read2_b32 v[12:13], v77 offset1:56
	ds_read2_b32 v[0:1], v22 offset0:188 offset1:244
	ds_read2_b32 v[10:11], v77 offset0:112 offset1:168
	;; [unrolled: 1-line block ×10, first 2 shown]
	v_add_u32_e32 v22, 0x1200, v77
	ds_read2_b32 v[22:23], v22 offset0:108 offset1:164
                                        ; implicit-def: $vgpr24
                                        ; implicit-def: $vgpr25
	s_and_saveexec_b64 s[2:3], s[0:1]
	s_cbranch_execz .LBB0_5
; %bb.4:
	ds_read_b32 v24, v77 offset:2688
	ds_read_b32 v25, v77 offset:5488
.LBB0_5:
	s_or_b64 exec, exec, s[2:3]
	s_waitcnt lgkmcnt(10)
	v_pk_add_f16 v28, v12, v0 neg_lo:[0,1] neg_hi:[0,1]
	v_add_co_u32_e32 v62, vcc, 56, v101
	v_add_co_u32_e32 v61, vcc, 0x70, v101
	v_pk_add_f16 v29, v13, v1 neg_lo:[0,1] neg_hi:[0,1]
	s_waitcnt lgkmcnt(8)
	v_pk_add_f16 v14, v10, v14 neg_lo:[0,1] neg_hi:[0,1]
	v_lshlrev_b32_e32 v108, 3, v101
	v_pk_fma_f16 v27, v12, 2.0, v28 op_sel_hi:[1,0,1] neg_lo:[0,0,1] neg_hi:[0,0,1]
	v_add_co_u32_e32 v60, vcc, 0xa8, v101
	s_movk_i32 s2, 0xe0
	v_pk_add_f16 v15, v11, v15 neg_lo:[0,1] neg_hi:[0,1]
	s_waitcnt lgkmcnt(0)
	; wave barrier
	s_waitcnt lgkmcnt(0)
	ds_write_b64 v108, v[27:28]
	v_lshlrev_b32_e32 v109, 3, v62
	v_pk_fma_f16 v28, v13, 2.0, v29 op_sel_hi:[1,0,1] neg_lo:[0,0,1] neg_hi:[0,0,1]
	v_lshlrev_b32_e32 v110, 3, v61
	v_pk_fma_f16 v13, v10, 2.0, v14 op_sel_hi:[1,0,1] neg_lo:[0,0,1] neg_hi:[0,0,1]
	v_add_co_u32_e32 v59, vcc, s2, v101
	v_lshlrev_b32_e32 v26, 1, v101
	v_pk_add_f16 v16, v8, v16 neg_lo:[0,1] neg_hi:[0,1]
	ds_write_b64 v109, v[28:29]
	ds_write_b64 v110, v[13:14]
	v_lshlrev_b32_e32 v111, 3, v60
	v_pk_fma_f16 v14, v11, 2.0, v15 op_sel_hi:[1,0,1] neg_lo:[0,0,1] neg_hi:[0,0,1]
	v_pk_add_f16 v17, v9, v17 neg_lo:[0,1] neg_hi:[0,1]
	v_pk_add_f16 v34, v6, v18 neg_lo:[0,1] neg_hi:[0,1]
	ds_write_b64 v111, v[14:15]
	v_lshlrev_b32_e32 v113, 3, v59
	v_pk_fma_f16 v15, v8, 2.0, v16 op_sel_hi:[1,0,1] neg_lo:[0,0,1] neg_hi:[0,0,1]
	v_lshlrev_b32_e32 v8, 2, v26
	s_load_dwordx2 s[4:5], s[4:5], 0x8
	v_pk_add_f16 v18, v7, v19 neg_lo:[0,1] neg_hi:[0,1]
	ds_write_b64 v113, v[15:16]
	v_pk_fma_f16 v16, v9, 2.0, v17 op_sel_hi:[1,0,1] neg_lo:[0,0,1] neg_hi:[0,0,1]
	v_pk_fma_f16 v33, v6, 2.0, v34 op_sel_hi:[1,0,1] neg_lo:[0,0,1] neg_hi:[0,0,1]
	v_add_u32_e32 v6, 0x800, v8
	v_pk_add_f16 v19, v4, v20 neg_lo:[0,1] neg_hi:[0,1]
	ds_write2_b64 v6, v[16:17], v[33:34] offset0:24 offset1:80
	v_pk_fma_f16 v17, v7, 2.0, v18 op_sel_hi:[1,0,1] neg_lo:[0,0,1] neg_hi:[0,0,1]
	s_movk_i32 s2, 0x2a0
	v_pk_add_f16 v20, v5, v21 neg_lo:[0,1] neg_hi:[0,1]
	v_pk_add_f16 v22, v2, v22 neg_lo:[0,1] neg_hi:[0,1]
	ds_write_b64 v8, v[17:18] offset:3136
	v_lshlrev_b32_e32 v115, 3, v86
	v_pk_fma_f16 v18, v4, 2.0, v19 op_sel_hi:[1,0,1] neg_lo:[0,0,1] neg_hi:[0,0,1]
	v_add_co_u32_e32 v32, vcc, s2, v101
	v_pk_add_f16 v23, v3, v23 neg_lo:[0,1] neg_hi:[0,1]
	v_pk_add_f16 v1, v24, v25 neg_lo:[0,1] neg_hi:[0,1]
	ds_write_b64 v115, v[18:19]
	v_pk_fma_f16 v19, v5, 2.0, v20 op_sel_hi:[1,0,1] neg_lo:[0,0,1] neg_hi:[0,0,1]
	v_pk_fma_f16 v21, v2, 2.0, v22 op_sel_hi:[1,0,1] neg_lo:[0,0,1] neg_hi:[0,0,1]
	v_add_u32_e32 v2, 0xc00, v8
	v_pk_fma_f16 v0, v24, 2.0, v1 op_sel_hi:[1,0,1] neg_lo:[0,0,1] neg_hi:[0,0,1]
	v_lshlrev_b32_e32 v27, 1, v62
	v_lshlrev_b32_e32 v28, 1, v61
	v_lshlrev_b32_e32 v29, 1, v60
	v_lshlrev_b32_e32 v30, 1, v59
	v_add_u32_e32 v57, 0x230, v26
	v_add_u32_e32 v58, 0x2a0, v26
	;; [unrolled: 1-line block ×3, first 2 shown]
	v_lshlrev_b32_e32 v31, 1, v86
	v_add_u32_e32 v119, 0x3f0, v26
	v_add_u32_e32 v122, 0x460, v26
	ds_write2_b64 v2, v[19:20], v[21:22] offset0:120 offset1:176
	v_add_u32_e32 v125, 0x4d0, v26
	v_pk_fma_f16 v22, v3, 2.0, v23 op_sel_hi:[1,0,1] neg_lo:[0,0,1] neg_hi:[0,0,1]
	v_lshlrev_b32_e32 v114, 3, v32
	ds_write_b64 v8, v[22:23] offset:4928
	s_and_saveexec_b64 s[2:3], s[0:1]
	s_cbranch_execz .LBB0_7
; %bb.6:
	ds_write_b64 v114, v[0:1]
.LBB0_7:
	s_or_b64 exec, exec, s[2:3]
	v_add_u32_e32 v2, 0x800, v77
	v_add_u32_e32 v3, 0xc00, v77
	;; [unrolled: 1-line block ×3, first 2 shown]
	s_waitcnt lgkmcnt(0)
	; wave barrier
	s_waitcnt lgkmcnt(0)
	ds_read2_b32 v[12:13], v77 offset1:56
	ds_read2_b32 v[14:15], v2 offset0:188 offset1:244
	ds_read2_b32 v[10:11], v77 offset0:112 offset1:168
	;; [unrolled: 1-line block ×5, first 2 shown]
	v_add_u32_e32 v3, 0x400, v77
	v_add_u32_e32 v20, 0x1000, v77
	ds_read2_b32 v[6:7], v3 offset0:80 offset1:136
	ds_read2_b32 v[18:19], v20 offset0:12 offset1:68
	;; [unrolled: 1-line block ×5, first 2 shown]
	v_add_u32_e32 v22, 0x1200, v77
	ds_read2_b32 v[22:23], v22 offset0:108 offset1:164
	s_and_saveexec_b64 s[2:3], s[0:1]
	s_cbranch_execz .LBB0_9
; %bb.8:
	ds_read_b32 v0, v77 offset:2688
	ds_read_b32 v1, v77 offset:5488
.LBB0_9:
	s_or_b64 exec, exec, s[2:3]
	v_and_b32_e32 v104, 1, v101
	v_lshlrev_b32_e32 v33, 2, v104
	global_load_dword v106, v33, s[4:5]
	s_waitcnt lgkmcnt(10)
	v_lshrrev_b32_e32 v34, 16, v14
	s_waitcnt lgkmcnt(0)
	v_lshrrev_b32_e32 v66, 16, v1
	v_lshrrev_b32_e32 v45, 16, v24
	v_lshrrev_b32_e32 v33, 16, v12
	v_lshrrev_b32_e32 v36, 16, v15
	v_lshrrev_b32_e32 v47, 16, v25
	s_movk_i32 s2, 0x7c
	v_lshrrev_b32_e32 v35, 16, v13
	v_lshrrev_b32_e32 v38, 16, v16
	;; [unrolled: 1-line block ×6, first 2 shown]
	s_waitcnt lgkmcnt(0)
	; wave barrier
	v_lshrrev_b32_e32 v39, 16, v11
	v_lshrrev_b32_e32 v53, 16, v20
	;; [unrolled: 1-line block ×5, first 2 shown]
	s_movk_i32 s3, 0x2fc
	v_lshrrev_b32_e32 v48, 16, v6
	v_lshrrev_b32_e32 v63, 16, v22
	;; [unrolled: 1-line block ×8, first 2 shown]
	s_waitcnt vmcnt(0)
	v_mul_f16_sdwa v67, v34, v106 dst_sel:DWORD dst_unused:UNUSED_PAD src0_sel:DWORD src1_sel:WORD_1
	v_mul_f16_sdwa v68, v14, v106 dst_sel:DWORD dst_unused:UNUSED_PAD src0_sel:DWORD src1_sel:WORD_1
	;; [unrolled: 1-line block ×5, first 2 shown]
	v_fma_f16 v14, v14, v106, -v67
	v_fma_f16 v34, v34, v106, v68
	v_fma_f16 v1, v1, v106, -v131
	v_mul_f16_sdwa v69, v36, v106 dst_sel:DWORD dst_unused:UNUSED_PAD src0_sel:DWORD src1_sel:WORD_1
	v_mul_f16_sdwa v70, v15, v106 dst_sel:DWORD dst_unused:UNUSED_PAD src0_sel:DWORD src1_sel:WORD_1
	;; [unrolled: 1-line block ×4, first 2 shown]
	v_fma_f16 v24, v24, v106, -v75
	v_fma_f16 v66, v66, v106, v132
	v_sub_f16_e32 v14, v12, v14
	v_sub_f16_e32 v67, v33, v34
	;; [unrolled: 1-line block ×3, first 2 shown]
	v_lshrrev_b32_e32 v1, 16, v0
	v_mul_f16_sdwa v107, v25, v106 dst_sel:DWORD dst_unused:UNUSED_PAD src0_sel:DWORD src1_sel:WORD_1
	v_mul_f16_sdwa v117, v18, v106 dst_sel:DWORD dst_unused:UNUSED_PAD src0_sel:DWORD src1_sel:WORD_1
	v_fma_f16 v15, v15, v106, -v69
	v_fma_f16 v25, v25, v106, -v105
	v_fma_f16 v36, v36, v106, v70
	v_fma_f16 v12, v12, 2.0, -v14
	v_fma_f16 v68, v33, 2.0, -v67
	v_sub_f16_e32 v69, v8, v24
	v_sub_f16_e32 v33, v1, v66
	v_fma_f16 v24, v0, 2.0, -v34
	v_and_or_b32 v0, v26, s2, v104
	v_mul_f16_sdwa v71, v38, v106 dst_sel:DWORD dst_unused:UNUSED_PAD src0_sel:DWORD src1_sel:WORD_1
	v_mul_f16_sdwa v72, v16, v106 dst_sel:DWORD dst_unused:UNUSED_PAD src0_sel:DWORD src1_sel:WORD_1
	v_mul_f16_sdwa v112, v49, v106 dst_sel:DWORD dst_unused:UNUSED_PAD src0_sel:DWORD src1_sel:WORD_1
	v_fma_f16 v49, v49, v106, v117
	v_sub_f16_e32 v15, v13, v15
	v_sub_f16_e32 v36, v35, v36
	;; [unrolled: 1-line block ×3, first 2 shown]
	v_fma_f16 v25, v1, 2.0, -v33
	v_lshlrev_b32_e32 v117, 2, v0
	v_pack_b32_f16 v0, v12, v68
	v_pack_b32_f16 v1, v14, v67
	s_movk_i32 s2, 0xfc
	v_mul_f16_sdwa v118, v51, v106 dst_sel:DWORD dst_unused:UNUSED_PAD src0_sel:DWORD src1_sel:WORD_1
	v_fma_f16 v16, v16, v106, -v71
	v_fma_f16 v38, v38, v106, v72
	v_fma_f16 v13, v13, 2.0, -v15
	v_fma_f16 v35, v35, 2.0, -v36
	ds_write2_b32 v117, v0, v1 offset1:2
	v_and_or_b32 v0, v27, s2, v104
	v_mul_f16_sdwa v73, v43, v106 dst_sel:DWORD dst_unused:UNUSED_PAD src0_sel:DWORD src1_sel:WORD_1
	v_mul_f16_sdwa v74, v17, v106 dst_sel:DWORD dst_unused:UNUSED_PAD src0_sel:DWORD src1_sel:WORD_1
	;; [unrolled: 1-line block ×3, first 2 shown]
	v_fma_f16 v19, v19, v106, -v118
	v_sub_f16_e32 v16, v10, v16
	v_sub_f16_e32 v38, v37, v38
	v_lshlrev_b32_e32 v118, 2, v0
	v_pack_b32_f16 v0, v13, v35
	v_pack_b32_f16 v1, v15, v36
	s_movk_i32 s2, 0x1fc
	v_fma_f16 v17, v17, v106, -v73
	v_fma_f16 v43, v43, v106, v74
	v_fma_f16 v10, v10, 2.0, -v16
	v_fma_f16 v37, v37, 2.0, -v38
	ds_write2_b32 v118, v0, v1 offset1:2
	v_and_or_b32 v0, v28, s2, v104
	v_fma_f16 v51, v51, v106, v120
	v_sub_f16_e32 v17, v11, v17
	v_sub_f16_e32 v43, v39, v43
	v_lshlrev_b32_e32 v120, 2, v0
	v_pack_b32_f16 v0, v10, v37
	v_pack_b32_f16 v1, v16, v38
	v_mul_f16_sdwa v121, v53, v106 dst_sel:DWORD dst_unused:UNUSED_PAD src0_sel:DWORD src1_sel:WORD_1
	v_fma_f16 v45, v45, v106, v76
	v_fma_f16 v11, v11, 2.0, -v17
	v_fma_f16 v39, v39, 2.0, -v43
	ds_write2_b32 v120, v0, v1 offset1:2
	v_and_or_b32 v0, v29, s2, v104
	v_mul_f16_sdwa v123, v20, v106 dst_sel:DWORD dst_unused:UNUSED_PAD src0_sel:DWORD src1_sel:WORD_1
	v_fma_f16 v20, v20, v106, -v121
	v_sub_f16_e32 v45, v44, v45
	v_lshlrev_b32_e32 v121, 2, v0
	v_pack_b32_f16 v0, v11, v39
	v_pack_b32_f16 v1, v17, v43
	s_movk_i32 s2, 0x3fc
	v_mul_f16_sdwa v124, v55, v106 dst_sel:DWORD dst_unused:UNUSED_PAD src0_sel:DWORD src1_sel:WORD_1
	v_fma_f16 v47, v47, v106, v107
	v_fma_f16 v8, v8, 2.0, -v69
	v_fma_f16 v44, v44, 2.0, -v45
	ds_write2_b32 v121, v0, v1 offset1:2
	v_and_or_b32 v0, v30, s2, v104
	v_mul_f16_sdwa v126, v21, v106 dst_sel:DWORD dst_unused:UNUSED_PAD src0_sel:DWORD src1_sel:WORD_1
	v_fma_f16 v21, v21, v106, -v124
	v_sub_f16_e32 v47, v46, v47
	v_lshlrev_b32_e32 v124, 2, v0
	v_pack_b32_f16 v0, v8, v44
	v_pack_b32_f16 v1, v69, v45
	v_fma_f16 v18, v18, v106, -v112
	v_fma_f16 v9, v9, 2.0, -v70
	v_fma_f16 v46, v46, 2.0, -v47
	ds_write2_b32 v124, v0, v1 offset1:2
	v_and_or_b32 v0, v57, s3, v104
	v_fma_f16 v55, v55, v106, v126
	v_sub_f16_e32 v18, v6, v18
	v_sub_f16_e32 v49, v48, v49
	v_lshlrev_b32_e32 v126, 2, v0
	v_pack_b32_f16 v0, v9, v46
	v_pack_b32_f16 v1, v70, v47
	v_mul_f16_sdwa v127, v63, v106 dst_sel:DWORD dst_unused:UNUSED_PAD src0_sel:DWORD src1_sel:WORD_1
	v_fma_f16 v6, v6, 2.0, -v18
	v_fma_f16 v48, v48, 2.0, -v49
	ds_write2_b32 v126, v0, v1 offset1:2
	v_and_or_b32 v0, v58, s2, v104
	v_mul_f16_sdwa v128, v22, v106 dst_sel:DWORD dst_unused:UNUSED_PAD src0_sel:DWORD src1_sel:WORD_1
	v_fma_f16 v22, v22, v106, -v127
	v_sub_f16_e32 v19, v7, v19
	v_sub_f16_e32 v51, v50, v51
	v_lshlrev_b32_e32 v127, 2, v0
	v_pack_b32_f16 v0, v6, v48
	v_pack_b32_f16 v1, v18, v49
	v_fma_f16 v53, v53, v106, v123
	v_fma_f16 v7, v7, 2.0, -v19
	v_fma_f16 v50, v50, 2.0, -v51
	ds_write2_b32 v127, v0, v1 offset1:2
	v_and_or_b32 v0, v116, s2, v104
	v_fma_f16 v63, v63, v106, v128
	v_sub_f16_e32 v20, v4, v20
	v_sub_f16_e32 v53, v52, v53
	v_lshlrev_b32_e32 v128, 2, v0
	v_pack_b32_f16 v0, v7, v50
	v_pack_b32_f16 v1, v19, v51
	v_mul_f16_sdwa v129, v65, v106 dst_sel:DWORD dst_unused:UNUSED_PAD src0_sel:DWORD src1_sel:WORD_1
	v_fma_f16 v4, v4, 2.0, -v20
	v_fma_f16 v52, v52, 2.0, -v53
	ds_write2_b32 v128, v0, v1 offset1:2
	v_and_or_b32 v0, v31, s2, v104
	v_mul_f16_sdwa v130, v23, v106 dst_sel:DWORD dst_unused:UNUSED_PAD src0_sel:DWORD src1_sel:WORD_1
	v_fma_f16 v23, v23, v106, -v129
	v_sub_f16_e32 v21, v5, v21
	v_sub_f16_e32 v55, v54, v55
	v_lshlrev_b32_e32 v129, 2, v0
	v_pack_b32_f16 v0, v4, v52
	v_pack_b32_f16 v1, v20, v53
	s_movk_i32 s2, 0x7fc
	v_fma_f16 v5, v5, 2.0, -v21
	v_fma_f16 v54, v54, 2.0, -v55
	ds_write2_b32 v129, v0, v1 offset1:2
	v_and_or_b32 v0, v119, s2, v104
	v_fma_f16 v65, v65, v106, v130
	v_sub_f16_e32 v22, v2, v22
	v_sub_f16_e32 v63, v56, v63
	v_lshlrev_b32_e32 v130, 2, v0
	v_pack_b32_f16 v0, v5, v54
	v_pack_b32_f16 v1, v21, v55
	s_movk_i32 s2, 0x4fc
	v_fma_f16 v2, v2, 2.0, -v22
	v_fma_f16 v56, v56, 2.0, -v63
	ds_write2_b32 v130, v0, v1 offset1:2
	v_and_or_b32 v0, v122, s2, v104
	v_sub_f16_e32 v23, v3, v23
	v_sub_f16_e32 v65, v64, v65
	v_lshlrev_b32_e32 v131, 2, v0
	v_pack_b32_f16 v0, v2, v56
	v_pack_b32_f16 v1, v22, v63
	s_movk_i32 s2, 0x5fc
	v_fma_f16 v3, v3, 2.0, -v23
	v_fma_f16 v64, v64, 2.0, -v65
	ds_write2_b32 v131, v0, v1 offset1:2
	v_and_or_b32 v0, v125, s2, v104
	v_lshlrev_b32_e32 v132, 2, v0
	v_pack_b32_f16 v0, v3, v64
	v_pack_b32_f16 v1, v23, v65
	v_lshlrev_b32_e32 v105, 1, v32
	ds_write2_b32 v132, v0, v1 offset1:2
	s_and_saveexec_b64 s[2:3], s[0:1]
	s_cbranch_execz .LBB0_11
; %bb.10:
	s_movk_i32 s14, 0x57c
	v_and_or_b32 v0, v105, s14, v104
	s_mov_b32 s14, 0x5040100
	v_lshlrev_b32_e32 v0, 2, v0
	v_perm_b32 v1, v25, v24, s14
	v_perm_b32 v2, v33, v34, s14
	ds_write2_b32 v0, v1, v2 offset1:2
.LBB0_11:
	s_or_b64 exec, exec, s[2:3]
	v_add_u32_e32 v0, 0x800, v77
	v_add_u32_e32 v1, 0xc00, v77
	v_add_u32_e32 v2, 0x200, v77
	s_waitcnt lgkmcnt(0)
	; wave barrier
	s_waitcnt lgkmcnt(0)
	ds_read2_b32 v[10:11], v77 offset1:56
	ds_read2_b32 v[22:23], v0 offset0:188 offset1:244
	ds_read2_b32 v[8:9], v77 offset0:112 offset1:168
	;; [unrolled: 1-line block ×5, first 2 shown]
	v_add_u32_e32 v1, 0x400, v77
	v_add_u32_e32 v12, 0x1000, v77
	ds_read2_b32 v[4:5], v1 offset0:80 offset1:136
	ds_read2_b32 v[16:17], v12 offset0:12 offset1:68
	;; [unrolled: 1-line block ×5, first 2 shown]
	v_add_u32_e32 v12, 0x1200, v77
	ds_read2_b32 v[12:13], v12 offset0:108 offset1:164
	s_and_saveexec_b64 s[2:3], s[0:1]
	s_cbranch_execz .LBB0_13
; %bb.12:
	ds_read_b32 v24, v77 offset:2688
	ds_read_b32 v34, v77 offset:5488
	s_waitcnt lgkmcnt(1)
	v_lshrrev_b32_e32 v25, 16, v24
	s_waitcnt lgkmcnt(0)
	v_lshrrev_b32_e32 v33, 16, v34
.LBB0_13:
	s_or_b64 exec, exec, s[2:3]
	v_and_b32_e32 v112, 3, v101
	v_lshlrev_b32_e32 v67, 2, v112
	global_load_dword v123, v67, s[4:5] offset:8
	s_waitcnt lgkmcnt(10)
	v_lshrrev_b32_e32 v35, 16, v22
	v_lshrrev_b32_e32 v37, 16, v23
	s_waitcnt lgkmcnt(8)
	v_lshrrev_b32_e32 v39, 16, v20
	v_lshrrev_b32_e32 v44, 16, v21
	;; [unrolled: 3-line block ×6, first 2 shown]
	v_lshrrev_b32_e32 v32, 16, v10
	s_movk_i32 s2, 0x78
	v_lshrrev_b32_e32 v36, 16, v11
	v_and_or_b32 v26, v26, s2, v112
	v_lshlrev_b32_e32 v133, 2, v26
	s_movk_i32 s2, 0xf8
	v_lshrrev_b32_e32 v38, 16, v8
	s_waitcnt lgkmcnt(0)
	; wave barrier
	v_lshrrev_b32_e32 v43, 16, v9
	v_lshrrev_b32_e32 v45, 16, v6
	;; [unrolled: 1-line block ×3, first 2 shown]
	s_movk_i32 s3, 0x2f8
	v_lshrrev_b32_e32 v49, 16, v4
	v_lshrrev_b32_e32 v51, 16, v5
	;; [unrolled: 1-line block ×6, first 2 shown]
	s_waitcnt vmcnt(0)
	v_mul_f16_sdwa v67, v35, v123 dst_sel:DWORD dst_unused:UNUSED_PAD src0_sel:DWORD src1_sel:WORD_1
	v_fma_f16 v67, v22, v123, -v67
	v_mul_f16_sdwa v22, v22, v123 dst_sel:DWORD dst_unused:UNUSED_PAD src0_sel:DWORD src1_sel:WORD_1
	v_fma_f16 v22, v35, v123, v22
	v_mul_f16_sdwa v35, v37, v123 dst_sel:DWORD dst_unused:UNUSED_PAD src0_sel:DWORD src1_sel:WORD_1
	v_fma_f16 v35, v23, v123, -v35
	v_mul_f16_sdwa v23, v23, v123 dst_sel:DWORD dst_unused:UNUSED_PAD src0_sel:DWORD src1_sel:WORD_1
	v_fma_f16 v23, v37, v123, v23
	;; [unrolled: 4-line block ×13, first 2 shown]
	v_sub_f16_e32 v34, v10, v67
	v_sub_f16_e32 v22, v32, v22
	v_fma_f16 v10, v10, 2.0, -v34
	v_fma_f16 v32, v32, 2.0, -v22
	v_sub_f16_e32 v35, v11, v35
	v_sub_f16_e32 v23, v36, v23
	v_pack_b32_f16 v10, v10, v32
	v_pack_b32_f16 v22, v34, v22
	v_fma_f16 v11, v11, 2.0, -v35
	v_fma_f16 v36, v36, 2.0, -v23
	ds_write2_b32 v133, v10, v22 offset1:4
	v_and_or_b32 v10, v27, s2, v112
	v_sub_f16_e32 v37, v8, v37
	v_sub_f16_e32 v67, v38, v20
	v_lshlrev_b32_e32 v134, 2, v10
	v_pack_b32_f16 v10, v11, v36
	v_pack_b32_f16 v11, v35, v23
	s_movk_i32 s2, 0x1f8
	v_fma_f16 v8, v8, 2.0, -v37
	v_fma_f16 v38, v38, 2.0, -v67
	ds_write2_b32 v134, v10, v11 offset1:4
	v_and_or_b32 v10, v28, s2, v112
	v_sub_f16_e32 v39, v9, v39
	v_sub_f16_e32 v21, v43, v21
	v_lshlrev_b32_e32 v135, 2, v10
	v_pack_b32_f16 v8, v8, v38
	v_pack_b32_f16 v10, v37, v67
	v_fma_f16 v9, v9, 2.0, -v39
	v_fma_f16 v43, v43, 2.0, -v21
	ds_write2_b32 v135, v8, v10 offset1:4
	v_and_or_b32 v8, v29, s2, v112
	v_sub_f16_e32 v44, v6, v44
	v_sub_f16_e32 v18, v45, v18
	v_lshlrev_b32_e32 v136, 2, v8
	v_pack_b32_f16 v8, v9, v43
	v_pack_b32_f16 v9, v39, v21
	s_movk_i32 s2, 0x3f8
	v_fma_f16 v6, v6, 2.0, -v44
	v_fma_f16 v45, v45, 2.0, -v18
	ds_write2_b32 v136, v8, v9 offset1:4
	v_and_or_b32 v8, v30, s2, v112
	v_sub_f16_e32 v46, v7, v46
	v_sub_f16_e32 v19, v47, v19
	v_lshlrev_b32_e32 v137, 2, v8
	v_pack_b32_f16 v6, v6, v45
	v_pack_b32_f16 v8, v44, v18
	v_fma_f16 v7, v7, 2.0, -v46
	v_fma_f16 v47, v47, 2.0, -v19
	ds_write2_b32 v137, v6, v8 offset1:4
	v_and_or_b32 v6, v57, s3, v112
	v_sub_f16_e32 v48, v4, v48
	v_sub_f16_e32 v16, v49, v16
	v_lshlrev_b32_e32 v138, 2, v6
	v_pack_b32_f16 v6, v7, v47
	v_pack_b32_f16 v7, v46, v19
	;; [unrolled: 9-line block ×5, first 2 shown]
	s_movk_i32 s2, 0x7f8
	v_fma_f16 v3, v3, 2.0, -v54
	v_fma_f16 v55, v55, 2.0, -v15
	ds_write2_b32 v141, v2, v4 offset1:4
	v_and_or_b32 v2, v119, s2, v112
	v_sub_f16_e32 v56, v0, v56
	v_sub_f16_e32 v12, v63, v12
	v_lshlrev_b32_e32 v142, 2, v2
	v_pack_b32_f16 v2, v3, v55
	v_pack_b32_f16 v3, v54, v15
	s_movk_i32 s2, 0x4f8
	v_fma_f16 v0, v0, 2.0, -v56
	v_fma_f16 v68, v63, 2.0, -v12
	ds_write2_b32 v142, v2, v3 offset1:4
	v_and_or_b32 v2, v122, s2, v112
	v_sub_f16_e32 v64, v1, v64
	v_sub_f16_e32 v13, v65, v13
	v_lshlrev_b32_e32 v143, 2, v2
	v_pack_b32_f16 v0, v0, v68
	v_pack_b32_f16 v2, v56, v12
	;; [unrolled: 10-line block ×3, first 2 shown]
	ds_write2_b32 v144, v0, v1 offset1:4
	s_and_saveexec_b64 s[2:3], s[0:1]
	s_cbranch_execz .LBB0_15
; %bb.14:
	s_movk_i32 s14, 0x578
	v_fma_f16 v0, v24, 2.0, -v20
	v_fma_f16 v1, v25, 2.0, -v63
	v_and_or_b32 v2, v105, s14, v112
	s_mov_b32 s14, 0x5040100
	v_lshlrev_b32_e32 v2, 2, v2
	v_pack_b32_f16 v0, v0, v1
	v_perm_b32 v1, v63, v20, s14
	ds_write2_b32 v2, v0, v1 offset1:4
.LBB0_15:
	s_or_b64 exec, exec, s[2:3]
	v_and_b32_e32 v3, 7, v101
	v_lshlrev_b32_e32 v0, 4, v3
	s_waitcnt lgkmcnt(0)
	; wave barrier
	s_waitcnt lgkmcnt(0)
	global_load_dwordx4 v[4:7], v0, s[4:5] offset:24
	v_add_u32_e32 v27, 0x1200, v77
	v_add_u32_e32 v31, 0xe00, v77
	ds_read2_b32 v[8:9], v77 offset1:56
	v_add_u32_e32 v0, 0x200, v77
	v_add_u32_e32 v2, 0x800, v77
	;; [unrolled: 1-line block ×5, first 2 shown]
	ds_read2_b32 v[10:11], v77 offset0:112 offset1:168
	ds_read_b32 v33, v77 offset:5376
	ds_read2_b32 v[12:13], v0 offset0:96 offset1:152
	ds_read2_b32 v[14:15], v2 offset0:48 offset1:104
	;; [unrolled: 1-line block ×10, first 2 shown]
	s_waitcnt lgkmcnt(9)
	v_lshrrev_b32_e32 v44, 16, v13
	s_waitcnt lgkmcnt(5)
	v_lshrrev_b32_e32 v52, 16, v22
	;; [unrolled: 2-line block ×3, first 2 shown]
	v_lshrrev_b32_e32 v54, 16, v24
	s_waitcnt lgkmcnt(2)
	v_lshrrev_b32_e32 v55, 16, v27
	s_waitcnt lgkmcnt(1)
	v_lshrrev_b32_e32 v56, 16, v29
	v_lshrrev_b32_e32 v64, 16, v26
	s_waitcnt lgkmcnt(0)
	v_lshrrev_b32_e32 v65, 16, v31
	v_lshrrev_b32_e32 v66, 16, v28
	;; [unrolled: 1-line block ×8, first 2 shown]
	s_movk_i32 s3, 0x3b9c
	s_mov_b32 s15, 0xbb9c
	v_lshrrev_b32_e32 v43, 16, v33
	s_movk_i32 s2, 0x38b4
	s_mov_b32 s16, 0xb8b4
	s_movk_i32 s14, 0x34f2
	v_lshrrev_b32_e32 v36, 16, v8
	v_lshrrev_b32_e32 v48, 16, v21
	;; [unrolled: 1-line block ×9, first 2 shown]
	s_waitcnt lgkmcnt(0)
	; wave barrier
	s_waitcnt vmcnt(0)
	v_mul_f16_sdwa v71, v44, v4 dst_sel:DWORD dst_unused:UNUSED_PAD src0_sel:DWORD src1_sel:WORD_1
	v_mul_f16_sdwa v154, v52, v4 dst_sel:DWORD dst_unused:UNUSED_PAD src0_sel:DWORD src1_sel:WORD_1
	v_mul_f16_sdwa v72, v13, v4 dst_sel:DWORD dst_unused:UNUSED_PAD src0_sel:DWORD src1_sel:WORD_1
	v_fma_f16 v13, v13, v4, -v71
	v_fma_f16 v71, v22, v4, -v154
	v_mul_f16_sdwa v22, v22, v4 dst_sel:DWORD dst_unused:UNUSED_PAD src0_sel:DWORD src1_sel:WORD_1
	v_fma_f16 v22, v52, v4, v22
	v_mul_f16_sdwa v52, v53, v5 dst_sel:DWORD dst_unused:UNUSED_PAD src0_sel:DWORD src1_sel:WORD_1
	v_fma_f16 v52, v25, v5, -v52
	v_mul_f16_sdwa v25, v25, v5 dst_sel:DWORD dst_unused:UNUSED_PAD src0_sel:DWORD src1_sel:WORD_1
	v_fma_f16 v25, v53, v5, v25
	v_mul_f16_sdwa v53, v54, v6 dst_sel:DWORD dst_unused:UNUSED_PAD src0_sel:DWORD src1_sel:WORD_1
	;; [unrolled: 4-line block ×8, first 2 shown]
	v_mul_f16_sdwa v73, v45, v5 dst_sel:DWORD dst_unused:UNUSED_PAD src0_sel:DWORD src1_sel:WORD_1
	v_mul_f16_sdwa v75, v46, v6 dst_sel:DWORD dst_unused:UNUSED_PAD src0_sel:DWORD src1_sel:WORD_1
	v_fma_f16 v66, v30, v4, -v66
	v_mul_f16_sdwa v30, v30, v4 dst_sel:DWORD dst_unused:UNUSED_PAD src0_sel:DWORD src1_sel:WORD_1
	v_mul_f16_sdwa v74, v14, v5 dst_sel:DWORD dst_unused:UNUSED_PAD src0_sel:DWORD src1_sel:WORD_1
	;; [unrolled: 1-line block ×4, first 2 shown]
	v_fma_f16 v14, v14, v5, -v73
	v_fma_f16 v17, v17, v6, -v75
	v_fma_f16 v30, v68, v4, v30
	v_mul_f16_sdwa v68, v69, v5 dst_sel:DWORD dst_unused:UNUSED_PAD src0_sel:DWORD src1_sel:WORD_1
	v_mul_f16_sdwa v107, v47, v7 dst_sel:DWORD dst_unused:UNUSED_PAD src0_sel:DWORD src1_sel:WORD_1
	v_fma_f16 v44, v44, v4, v72
	v_fma_f16 v47, v47, v7, v145
	v_fma_f16 v68, v16, v5, -v68
	v_mul_f16_sdwa v16, v16, v5 dst_sel:DWORD dst_unused:UNUSED_PAD src0_sel:DWORD src1_sel:WORD_1
	v_add_f16_e32 v72, v14, v17
	v_fma_f16 v45, v45, v5, v74
	v_fma_f16 v46, v46, v6, v76
	v_fma_f16 v18, v18, v7, -v107
	v_fma_f16 v16, v69, v5, v16
	v_mul_f16_sdwa v69, v70, v6 dst_sel:DWORD dst_unused:UNUSED_PAD src0_sel:DWORD src1_sel:WORD_1
	v_fma_f16 v72, v72, -0.5, v8
	v_sub_f16_e32 v73, v44, v47
	v_fma_f16 v69, v32, v6, -v69
	v_mul_f16_sdwa v32, v32, v6 dst_sel:DWORD dst_unused:UNUSED_PAD src0_sel:DWORD src1_sel:WORD_1
	v_fma_f16 v74, v73, s3, v72
	v_sub_f16_e32 v75, v45, v46
	v_sub_f16_e32 v76, v13, v14
	;; [unrolled: 1-line block ×3, first 2 shown]
	v_fma_f16 v72, v73, s15, v72
	v_fma_f16 v32, v70, v6, v32
	v_mul_f16_sdwa v70, v43, v7 dst_sel:DWORD dst_unused:UNUSED_PAD src0_sel:DWORD src1_sel:WORD_1
	v_fma_f16 v74, v75, s2, v74
	v_add_f16_e32 v76, v76, v107
	v_fma_f16 v72, v75, s16, v72
	v_fma_f16 v70, v33, v7, -v70
	v_mul_f16_sdwa v33, v33, v7 dst_sel:DWORD dst_unused:UNUSED_PAD src0_sel:DWORD src1_sel:WORD_1
	v_fma_f16 v74, v76, s14, v74
	v_fma_f16 v76, v76, s14, v72
	v_add_f16_e32 v72, v13, v18
	v_fma_f16 v33, v43, v7, v33
	v_add_f16_e32 v43, v8, v13
	v_fma_f16 v8, v72, -0.5, v8
	v_fma_f16 v72, v75, s15, v8
	v_sub_f16_e32 v107, v14, v13
	v_sub_f16_e32 v145, v17, v18
	v_mul_f16_sdwa v146, v48, v4 dst_sel:DWORD dst_unused:UNUSED_PAD src0_sel:DWORD src1_sel:WORD_1
	v_fma_f16 v72, v73, s2, v72
	v_add_f16_e32 v107, v107, v145
	v_mul_f16_sdwa v147, v21, v4 dst_sel:DWORD dst_unused:UNUSED_PAD src0_sel:DWORD src1_sel:WORD_1
	v_fma_f16 v21, v21, v4, -v146
	v_fma_f16 v146, v107, s14, v72
	v_add_f16_e32 v72, v36, v44
	v_add_f16_e32 v72, v72, v45
	;; [unrolled: 1-line block ×4, first 2 shown]
	v_fma_f16 v8, v75, s3, v8
	v_add_f16_e32 v75, v72, v47
	v_add_f16_e32 v72, v45, v46
	;; [unrolled: 1-line block ×3, first 2 shown]
	v_fma_f16 v72, v72, -0.5, v36
	v_sub_f16_e32 v13, v13, v18
	v_add_f16_e32 v43, v43, v18
	v_fma_f16 v18, v13, s15, v72
	v_sub_f16_e32 v14, v14, v17
	v_fma_f16 v8, v73, s16, v8
	v_fma_f16 v17, v14, s16, v18
	v_sub_f16_e32 v18, v44, v45
	v_sub_f16_e32 v73, v47, v46
	v_fma_f16 v72, v13, s3, v72
	v_add_f16_e32 v18, v18, v73
	v_fma_f16 v72, v14, s2, v72
	v_fma_f16 v17, v18, s14, v17
	;; [unrolled: 1-line block ×3, first 2 shown]
	v_add_f16_e32 v72, v44, v47
	v_mul_f16_sdwa v148, v49, v5 dst_sel:DWORD dst_unused:UNUSED_PAD src0_sel:DWORD src1_sel:WORD_1
	v_mul_f16_sdwa v150, v50, v6 dst_sel:DWORD dst_unused:UNUSED_PAD src0_sel:DWORD src1_sel:WORD_1
	v_fma_f16 v36, v72, -0.5, v36
	v_mul_f16_sdwa v149, v15, v5 dst_sel:DWORD dst_unused:UNUSED_PAD src0_sel:DWORD src1_sel:WORD_1
	v_mul_f16_sdwa v151, v23, v6 dst_sel:DWORD dst_unused:UNUSED_PAD src0_sel:DWORD src1_sel:WORD_1
	;; [unrolled: 1-line block ×3, first 2 shown]
	v_fma_f16 v15, v15, v5, -v148
	v_fma_f16 v23, v23, v6, -v150
	v_fma_f16 v72, v14, s3, v36
	v_sub_f16_e32 v44, v45, v44
	v_sub_f16_e32 v45, v46, v47
	v_fma_f16 v14, v14, s15, v36
	v_mul_f16_sdwa v152, v51, v7 dst_sel:DWORD dst_unused:UNUSED_PAD src0_sel:DWORD src1_sel:WORD_1
	v_fma_f16 v48, v48, v4, v147
	v_fma_f16 v51, v51, v7, v153
	;; [unrolled: 1-line block ×3, first 2 shown]
	v_add_f16_e32 v44, v44, v45
	v_fma_f16 v13, v13, s2, v14
	v_add_f16_e32 v36, v15, v23
	v_fma_f16 v49, v49, v5, v149
	v_fma_f16 v50, v50, v6, v151
	v_fma_f16 v19, v19, v7, -v152
	v_fma_f16 v45, v44, s14, v72
	v_fma_f16 v13, v44, s14, v13
	v_fma_f16 v36, v36, -0.5, v9
	v_sub_f16_e32 v44, v48, v51
	v_fma_f16 v46, v44, s3, v36
	v_sub_f16_e32 v47, v49, v50
	v_sub_f16_e32 v72, v21, v15
	;; [unrolled: 1-line block ×3, first 2 shown]
	v_fma_f16 v36, v44, s15, v36
	v_fma_f16 v46, v47, s2, v46
	v_add_f16_e32 v72, v72, v73
	v_fma_f16 v36, v47, s16, v36
	v_add_f16_e32 v14, v9, v21
	v_fma_f16 v46, v72, s14, v46
	v_fma_f16 v36, v72, s14, v36
	v_add_f16_e32 v72, v21, v19
	v_add_f16_e32 v14, v14, v15
	v_fma_f16 v9, v72, -0.5, v9
	v_fma_f16 v8, v107, s14, v8
	v_add_f16_e32 v14, v14, v23
	v_fma_f16 v72, v47, s15, v9
	v_sub_f16_e32 v73, v15, v21
	v_sub_f16_e32 v107, v23, v19
	v_fma_f16 v9, v47, s3, v9
	v_add_f16_e32 v47, v49, v50
	v_add_f16_e32 v14, v14, v19
	v_fma_f16 v72, v44, s2, v72
	v_add_f16_e32 v73, v73, v107
	v_fma_f16 v47, v47, -0.5, v37
	v_sub_f16_e32 v19, v21, v19
	v_fma_f16 v107, v73, s14, v72
	v_fma_f16 v21, v19, s15, v47
	v_sub_f16_e32 v15, v15, v23
	v_sub_f16_e32 v23, v48, v49
	;; [unrolled: 1-line block ×3, first 2 shown]
	v_fma_f16 v47, v19, s3, v47
	v_fma_f16 v21, v15, s16, v21
	v_add_f16_e32 v23, v23, v72
	v_fma_f16 v47, v15, s2, v47
	v_fma_f16 v21, v23, s14, v21
	;; [unrolled: 1-line block ×3, first 2 shown]
	v_add_f16_e32 v23, v48, v51
	v_fma_f16 v9, v44, s16, v9
	v_add_f16_e32 v44, v37, v48
	v_fma_f16 v23, v23, -0.5, v37
	v_add_f16_e32 v44, v44, v49
	v_fma_f16 v37, v15, s3, v23
	v_sub_f16_e32 v48, v49, v48
	v_sub_f16_e32 v49, v50, v51
	v_fma_f16 v15, v15, s15, v23
	v_fma_f16 v37, v19, s16, v37
	v_add_f16_e32 v48, v48, v49
	v_fma_f16 v15, v19, s2, v15
	v_add_f16_e32 v23, v52, v53
	v_add_f16_e32 v44, v44, v50
	v_fma_f16 v37, v48, s14, v37
	v_fma_f16 v15, v48, s14, v15
	v_fma_f16 v23, v23, -0.5, v10
	v_sub_f16_e32 v48, v22, v27
	v_add_f16_e32 v44, v44, v51
	v_fma_f16 v49, v48, s3, v23
	v_sub_f16_e32 v50, v25, v24
	v_sub_f16_e32 v51, v71, v52
	v_sub_f16_e32 v72, v54, v53
	v_fma_f16 v23, v48, s15, v23
	v_fma_f16 v49, v50, s2, v49
	v_add_f16_e32 v51, v51, v72
	v_fma_f16 v23, v50, s16, v23
	v_fma_f16 v49, v51, s14, v49
	;; [unrolled: 1-line block ×3, first 2 shown]
	v_add_f16_e32 v23, v71, v54
	v_add_f16_e32 v19, v10, v71
	v_fma_f16 v10, v23, -0.5, v10
	v_fma_f16 v9, v73, s14, v9
	v_fma_f16 v23, v50, s15, v10
	v_sub_f16_e32 v72, v52, v71
	v_sub_f16_e32 v73, v53, v54
	v_fma_f16 v23, v48, s2, v23
	v_add_f16_e32 v72, v72, v73
	v_fma_f16 v148, v72, s14, v23
	v_add_f16_e32 v23, v38, v22
	v_add_f16_e32 v23, v23, v25
	v_fma_f16 v10, v50, s3, v10
	v_add_f16_e32 v23, v23, v24
	;; [unrolled: 3-line block ×3, first 2 shown]
	v_add_f16_e32 v23, v25, v24
	v_add_f16_e32 v19, v19, v53
	v_fma_f16 v23, v23, -0.5, v38
	v_sub_f16_e32 v50, v71, v54
	v_add_f16_e32 v19, v19, v54
	v_fma_f16 v54, v50, s15, v23
	v_sub_f16_e32 v52, v52, v53
	v_fma_f16 v53, v52, s16, v54
	v_sub_f16_e32 v54, v22, v25
	v_sub_f16_e32 v71, v27, v24
	v_fma_f16 v23, v50, s3, v23
	v_add_f16_e32 v54, v54, v71
	v_fma_f16 v23, v52, s2, v23
	v_fma_f16 v53, v54, s14, v53
	;; [unrolled: 1-line block ×3, first 2 shown]
	v_add_f16_e32 v23, v22, v27
	v_fma_f16 v23, v23, -0.5, v38
	v_fma_f16 v38, v52, s3, v23
	v_sub_f16_e32 v22, v25, v22
	v_sub_f16_e32 v24, v24, v27
	v_fma_f16 v23, v52, s15, v23
	v_fma_f16 v38, v50, s16, v38
	v_add_f16_e32 v22, v22, v24
	v_fma_f16 v23, v50, s2, v23
	v_fma_f16 v24, v22, s14, v38
	;; [unrolled: 1-line block ×3, first 2 shown]
	v_add_f16_e32 v22, v11, v55
	v_add_f16_e32 v22, v22, v56
	;; [unrolled: 1-line block ×5, first 2 shown]
	v_fma_f16 v22, v22, -0.5, v11
	v_sub_f16_e32 v23, v29, v28
	v_fma_f16 v38, v23, s3, v22
	v_sub_f16_e32 v50, v26, v31
	v_sub_f16_e32 v52, v55, v56
	;; [unrolled: 1-line block ×3, first 2 shown]
	v_fma_f16 v22, v23, s15, v22
	v_fma_f16 v38, v50, s2, v38
	v_add_f16_e32 v52, v52, v71
	v_fma_f16 v22, v50, s16, v22
	v_fma_f16 v38, v52, s14, v38
	;; [unrolled: 1-line block ×3, first 2 shown]
	v_add_f16_e32 v22, v55, v65
	v_fma_f16 v11, v22, -0.5, v11
	v_fma_f16 v10, v72, s14, v10
	v_fma_f16 v22, v50, s15, v11
	v_sub_f16_e32 v71, v56, v55
	v_sub_f16_e32 v72, v64, v65
	v_fma_f16 v22, v23, s2, v22
	v_add_f16_e32 v71, v71, v72
	v_fma_f16 v149, v71, s14, v22
	v_add_f16_e32 v22, v39, v29
	v_add_f16_e32 v22, v22, v26
	;; [unrolled: 1-line block ×3, first 2 shown]
	v_fma_f16 v11, v50, s3, v11
	v_add_f16_e32 v50, v22, v28
	v_add_f16_e32 v22, v26, v31
	v_fma_f16 v11, v23, s16, v11
	v_fma_f16 v22, v22, -0.5, v39
	v_sub_f16_e32 v23, v55, v65
	v_fma_f16 v55, v23, s15, v22
	v_sub_f16_e32 v56, v56, v64
	v_sub_f16_e32 v64, v29, v26
	;; [unrolled: 1-line block ×3, first 2 shown]
	v_fma_f16 v22, v23, s3, v22
	v_add_f16_e32 v64, v64, v65
	v_fma_f16 v22, v56, s2, v22
	v_fma_f16 v65, v64, s14, v22
	v_add_f16_e32 v22, v29, v28
	v_fma_f16 v22, v22, -0.5, v39
	v_fma_f16 v39, v56, s3, v22
	v_sub_f16_e32 v26, v26, v29
	v_sub_f16_e32 v28, v31, v28
	v_fma_f16 v22, v56, s15, v22
	v_fma_f16 v39, v23, s16, v39
	v_add_f16_e32 v26, v26, v28
	v_fma_f16 v22, v23, s2, v22
	v_fma_f16 v31, v26, s14, v39
	;; [unrolled: 1-line block ×3, first 2 shown]
	v_add_f16_e32 v22, v12, v66
	v_add_f16_e32 v22, v22, v68
	;; [unrolled: 1-line block ×5, first 2 shown]
	v_fma_f16 v55, v56, s16, v55
	v_fma_f16 v23, v22, -0.5, v12
	v_sub_f16_e32 v28, v30, v33
	v_fma_f16 v55, v64, s14, v55
	v_fma_f16 v22, v28, s3, v23
	v_sub_f16_e32 v56, v16, v32
	v_sub_f16_e32 v29, v66, v68
	;; [unrolled: 1-line block ×3, first 2 shown]
	v_fma_f16 v23, v28, s15, v23
	v_fma_f16 v22, v56, s2, v22
	v_add_f16_e32 v29, v29, v64
	v_fma_f16 v23, v56, s16, v23
	v_fma_f16 v22, v29, s14, v22
	;; [unrolled: 1-line block ×3, first 2 shown]
	v_add_f16_e32 v23, v66, v70
	v_fma_f16 v12, v23, -0.5, v12
	v_fma_f16 v11, v71, s14, v11
	v_fma_f16 v23, v56, s15, v12
	v_sub_f16_e32 v64, v68, v66
	v_sub_f16_e32 v71, v69, v70
	v_fma_f16 v12, v56, s3, v12
	v_add_f16_e32 v56, v16, v32
	v_fma_f16 v23, v28, s2, v23
	v_add_f16_e32 v64, v64, v71
	v_fma_f16 v12, v28, s16, v12
	v_fma_f16 v56, v56, -0.5, v67
	v_sub_f16_e32 v66, v66, v70
	v_fma_f16 v23, v64, s14, v23
	v_fma_f16 v28, v64, s14, v12
	;; [unrolled: 1-line block ×3, first 2 shown]
	v_sub_f16_e32 v68, v68, v69
	v_sub_f16_e32 v69, v30, v16
	;; [unrolled: 1-line block ×3, first 2 shown]
	v_fma_f16 v56, v66, s3, v56
	v_add_f16_e32 v69, v69, v70
	v_fma_f16 v56, v68, s2, v56
	v_add_f16_e32 v12, v67, v30
	;; [unrolled: 2-line block ×3, first 2 shown]
	v_add_f16_e32 v12, v12, v16
	v_fma_f16 v56, v56, -0.5, v67
	v_sub_f16_e32 v16, v16, v30
	v_sub_f16_e32 v30, v32, v33
	v_fma_f16 v67, v68, s3, v56
	v_add_f16_e32 v16, v16, v30
	v_fma_f16 v30, v68, s15, v56
	v_fma_f16 v67, v66, s16, v67
	;; [unrolled: 1-line block ×5, first 2 shown]
	v_lshrrev_b32_e32 v16, 3, v101
	v_mul_u32_u24_e32 v16, 40, v16
	v_or_b32_e32 v16, v16, v3
	v_lshlrev_b32_e32 v145, 2, v16
	v_pack_b32_f16 v16, v43, v75
	v_pack_b32_f16 v17, v74, v17
	ds_write2_b32 v145, v16, v17 offset1:8
	v_pack_b32_f16 v16, v146, v45
	v_pack_b32_f16 v8, v8, v13
	ds_write2_b32 v145, v16, v8 offset0:16 offset1:24
	v_pack_b32_f16 v8, v76, v18
	ds_write_b32 v145, v8 offset:128
	v_lshrrev_b32_e32 v8, 3, v62
	v_mul_u32_u24_e32 v8, 40, v8
	v_or_b32_e32 v8, v8, v3
	v_lshlrev_b32_e32 v146, 2, v8
	v_pack_b32_f16 v8, v14, v44
	v_pack_b32_f16 v13, v46, v21
	ds_write2_b32 v146, v8, v13 offset1:8
	v_pack_b32_f16 v8, v107, v37
	v_pack_b32_f16 v9, v9, v15
	ds_write2_b32 v146, v8, v9 offset0:16 offset1:24
	v_pack_b32_f16 v8, v36, v47
	ds_write_b32 v146, v8 offset:128
	;; [unrolled: 12-line block ×4, first 2 shown]
	v_lshrrev_b32_e32 v8, 3, v59
	v_add_f16_e32 v12, v12, v32
	v_fma_f16 v64, v68, s16, v64
	v_mul_u32_u24_e32 v8, 40, v8
	v_add_f16_e32 v12, v12, v33
	v_fma_f16 v64, v69, s14, v64
	v_or_b32_e32 v3, v8, v3
	v_lshlrev_b32_e32 v149, 2, v3
	v_pack_b32_f16 v3, v39, v12
	v_pack_b32_f16 v8, v22, v64
	ds_write2_b32 v149, v3, v8 offset1:8
	v_pack_b32_f16 v3, v23, v72
	v_pack_b32_f16 v8, v28, v73
	ds_write2_b32 v149, v3, v8 offset0:16 offset1:24
	v_pack_b32_f16 v3, v29, v71
	ds_write_b32 v149, v3 offset:128
	s_waitcnt lgkmcnt(0)
	; wave barrier
	s_waitcnt lgkmcnt(0)
	ds_read2_b32 v[26:27], v77 offset1:56
	ds_read2_b32 v[24:25], v77 offset0:112 offset1:200
	ds_read2_b32 v[55:56], v35 offset0:144 offset1:200
	ds_read2_b32 v[32:33], v2 offset1:88
	ds_read2_b32 v[53:54], v34 offset0:32 offset1:88
	ds_read2_b32 v[30:31], v34 offset0:144 offset1:232
	;; [unrolled: 1-line block ×3, first 2 shown]
	ds_read2_b32 v[38:39], v35 offset1:56
	ds_read2_b32 v[36:37], v2 offset0:144 offset1:200
	ds_read2_b32 v[34:35], v1 offset0:32 offset1:88
	ds_read_b32 v74, v77 offset:5248
	v_cmp_gt_u16_e64 s[2:3], 32, v101
                                        ; implicit-def: $vgpr76
                                        ; implicit-def: $vgpr75
                                        ; implicit-def: $vgpr150
	s_and_saveexec_b64 s[14:15], s[2:3]
	s_cbranch_execz .LBB0_17
; %bb.16:
	ds_read2_b32 v[22:23], v0 offset0:40 offset1:240
	v_add_u32_e32 v0, 0x880, v77
	v_add_u32_e32 v1, 0xf00, v77
	ds_read2_b32 v[28:29], v0 offset0:24 offset1:224
	ds_read2_b32 v[20:21], v1 offset0:8 offset1:208
	ds_read_b32 v75, v77 offset:5472
	s_waitcnt lgkmcnt(3)
	v_lshrrev_b32_e32 v64, 16, v22
	v_lshrrev_b32_e32 v72, 16, v23
	s_waitcnt lgkmcnt(2)
	v_lshrrev_b32_e32 v73, 16, v28
	v_lshrrev_b32_e32 v71, 16, v29
	;; [unrolled: 3-line block ×3, first 2 shown]
	s_waitcnt lgkmcnt(0)
	v_lshrrev_b32_e32 v150, 16, v75
.LBB0_17:
	s_or_b64 exec, exec, s[14:15]
	v_subrev_u32_e32 v0, 40, v101
	v_cmp_gt_u16_e32 vcc, 40, v101
	v_cndmask_b32_e32 v65, v0, v101, vcc
	v_mul_i32_i24_e32 v0, 24, v65
	v_mul_hi_i32_i24_e32 v1, 24, v65
	v_mov_b32_e32 v2, s5
	v_add_co_u32_e32 v0, vcc, s4, v0
	v_addc_co_u32_e32 v1, vcc, v2, v1, vcc
	s_movk_i32 s16, 0xcd
	global_load_dwordx4 v[8:11], v[0:1], off offset:152
	global_load_dwordx2 v[45:46], v[0:1], off offset:168
	v_mul_lo_u16_sdwa v0, v62, s16 dst_sel:DWORD dst_unused:UNUSED_PAD src0_sel:BYTE_0 src1_sel:DWORD
	v_lshrrev_b16_e32 v66, 13, v0
	v_mul_lo_u16_e32 v0, 40, v66
	v_sub_u16_e32 v0, v62, v0
	v_and_b32_e32 v67, 0xff, v0
	v_mad_u64_u32 v[0:1], s[14:15], v67, 24, s[4:5]
	v_mul_lo_u16_sdwa v2, v61, s16 dst_sel:DWORD dst_unused:UNUSED_PAD src0_sel:BYTE_0 src1_sel:DWORD
	v_lshrrev_b16_e32 v68, 13, v2
	global_load_dwordx4 v[12:15], v[0:1], off offset:152
	global_load_dwordx2 v[47:48], v[0:1], off offset:168
	v_mul_lo_u16_e32 v2, 40, v68
	v_sub_u16_e32 v0, v61, v2
	v_and_b32_e32 v69, 0xff, v0
	v_mad_u64_u32 v[0:1], s[14:15], v69, 24, s[4:5]
	v_mul_lo_u16_sdwa v2, v60, s16 dst_sel:DWORD dst_unused:UNUSED_PAD src0_sel:BYTE_0 src1_sel:DWORD
	v_lshrrev_b16_e32 v2, 13, v2
	global_load_dwordx4 v[16:19], v[0:1], off offset:152
	global_load_dwordx2 v[49:50], v[0:1], off offset:168
	v_mul_lo_u16_e32 v2, 40, v2
	v_sub_u16_e32 v107, v60, v2
	v_and_b32_e32 v70, 0xff, v107
	v_mad_u64_u32 v[43:44], s[14:15], v70, 24, s[4:5]
	s_waitcnt lgkmcnt(9)
	v_lshrrev_b32_e32 v151, 16, v25
	s_waitcnt lgkmcnt(7)
	v_lshrrev_b32_e32 v153, 16, v33
	global_load_dwordx4 v[0:3], v[43:44], off offset:152
	s_waitcnt lgkmcnt(3)
	v_lshrrev_b32_e32 v157, 16, v38
	global_load_dwordx2 v[43:44], v[43:44], off offset:168
	s_waitcnt lgkmcnt(2)
	v_lshrrev_b32_e32 v159, 16, v36
	v_lshrrev_b32_e32 v160, 16, v54
	s_waitcnt lgkmcnt(1)
	v_lshrrev_b32_e32 v161, 16, v34
	v_lshrrev_b32_e32 v162, 16, v52
	;; [unrolled: 1-line block ×7, first 2 shown]
	s_waitcnt lgkmcnt(0)
	v_lshrrev_b32_e32 v168, 16, v74
	v_lshrrev_b32_e32 v152, 16, v55
	;; [unrolled: 1-line block ×6, first 2 shown]
	s_movk_i32 s15, 0x2b26
	s_movk_i32 s14, 0x3b00
	s_mov_b32 s16, 0xbcab
	s_movk_i32 s17, 0x39e0
	s_mov_b32 s19, 0xb9e0
	;; [unrolled: 2-line block ×3, first 2 shown]
	s_movk_i32 s18, 0x370e
	v_cmp_lt_u16_e32 vcc, 39, v101
	s_waitcnt lgkmcnt(0)
	; wave barrier
	s_waitcnt vmcnt(7)
	v_mul_f16_sdwa v169, v151, v8 dst_sel:DWORD dst_unused:UNUSED_PAD src0_sel:DWORD src1_sel:WORD_1
	v_mul_f16_sdwa v173, v153, v10 dst_sel:DWORD dst_unused:UNUSED_PAD src0_sel:DWORD src1_sel:WORD_1
	;; [unrolled: 1-line block ×4, first 2 shown]
	v_fma_f16 v25, v25, v8, -v169
	v_fma_f16 v33, v33, v10, -v173
	v_fma_f16 v151, v151, v8, v170
	v_mul_f16_sdwa v171, v152, v9 dst_sel:DWORD dst_unused:UNUSED_PAD src0_sel:DWORD src1_sel:WORD_1
	v_mul_f16_sdwa v172, v55, v9 dst_sel:DWORD dst_unused:UNUSED_PAD src0_sel:DWORD src1_sel:WORD_1
	s_waitcnt vmcnt(6)
	v_mul_f16_sdwa v177, v155, v45 dst_sel:DWORD dst_unused:UNUSED_PAD src0_sel:DWORD src1_sel:WORD_1
	v_mul_f16_sdwa v178, v31, v45 dst_sel:DWORD dst_unused:UNUSED_PAD src0_sel:DWORD src1_sel:WORD_1
	s_waitcnt vmcnt(5)
	v_mul_f16_sdwa v169, v157, v12 dst_sel:DWORD dst_unused:UNUSED_PAD src0_sel:DWORD src1_sel:WORD_1
	v_mul_f16_sdwa v173, v159, v14 dst_sel:DWORD dst_unused:UNUSED_PAD src0_sel:DWORD src1_sel:WORD_1
	;; [unrolled: 1-line block ×3, first 2 shown]
	v_fma_f16 v38, v38, v12, -v169
	v_fma_f16 v169, v36, v14, -v173
	v_mul_f16_sdwa v36, v36, v14 dst_sel:DWORD dst_unused:UNUSED_PAD src0_sel:DWORD src1_sel:WORD_1
	v_fma_f16 v36, v159, v14, v36
	v_mul_f16_sdwa v159, v160, v15 dst_sel:DWORD dst_unused:UNUSED_PAD src0_sel:DWORD src1_sel:WORD_1
	v_fma_f16 v159, v54, v15, -v159
	v_mul_f16_sdwa v54, v54, v15 dst_sel:DWORD dst_unused:UNUSED_PAD src0_sel:DWORD src1_sel:WORD_1
	v_fma_f16 v54, v160, v15, v54
	s_waitcnt vmcnt(4)
	v_mul_f16_sdwa v160, v161, v47 dst_sel:DWORD dst_unused:UNUSED_PAD src0_sel:DWORD src1_sel:WORD_1
	v_fma_f16 v160, v34, v47, -v160
	v_mul_f16_sdwa v34, v34, v47 dst_sel:DWORD dst_unused:UNUSED_PAD src0_sel:DWORD src1_sel:WORD_1
	v_fma_f16 v34, v161, v47, v34
	v_mul_f16_sdwa v161, v162, v48 dst_sel:DWORD dst_unused:UNUSED_PAD src0_sel:DWORD src1_sel:WORD_1
	v_fma_f16 v161, v52, v48, -v161
	v_mul_f16_sdwa v52, v52, v48 dst_sel:DWORD dst_unused:UNUSED_PAD src0_sel:DWORD src1_sel:WORD_1
	v_fma_f16 v52, v162, v48, v52
	s_waitcnt vmcnt(3)
	v_mul_f16_sdwa v162, v163, v16 dst_sel:DWORD dst_unused:UNUSED_PAD src0_sel:DWORD src1_sel:WORD_1
	v_fma_f16 v162, v39, v16, -v162
	v_mul_f16_sdwa v39, v39, v16 dst_sel:DWORD dst_unused:UNUSED_PAD src0_sel:DWORD src1_sel:WORD_1
	v_fma_f16 v39, v163, v16, v39
	v_mul_f16_sdwa v163, v164, v17 dst_sel:DWORD dst_unused:UNUSED_PAD src0_sel:DWORD src1_sel:WORD_1
	v_fma_f16 v163, v32, v17, -v163
	v_mul_f16_sdwa v32, v32, v17 dst_sel:DWORD dst_unused:UNUSED_PAD src0_sel:DWORD src1_sel:WORD_1
	v_fma_f16 v32, v164, v17, v32
	;; [unrolled: 4-line block ×4, first 2 shown]
	s_waitcnt vmcnt(2)
	v_mul_f16_sdwa v166, v167, v49 dst_sel:DWORD dst_unused:UNUSED_PAD src0_sel:DWORD src1_sel:WORD_1
	v_fma_f16 v166, v35, v49, -v166
	v_mul_f16_sdwa v35, v35, v49 dst_sel:DWORD dst_unused:UNUSED_PAD src0_sel:DWORD src1_sel:WORD_1
	v_fma_f16 v35, v167, v49, v35
	v_mul_f16_sdwa v167, v168, v50 dst_sel:DWORD dst_unused:UNUSED_PAD src0_sel:DWORD src1_sel:WORD_1
	v_fma_f16 v167, v74, v50, -v167
	v_mul_f16_sdwa v74, v74, v50 dst_sel:DWORD dst_unused:UNUSED_PAD src0_sel:DWORD src1_sel:WORD_1
	v_fma_f16 v74, v168, v50, v74
	s_waitcnt vmcnt(1)
	v_mul_f16_sdwa v168, v72, v0 dst_sel:DWORD dst_unused:UNUSED_PAD src0_sel:DWORD src1_sel:WORD_1
	v_fma_f16 v168, v23, v0, -v168
	v_mul_f16_sdwa v23, v23, v0 dst_sel:DWORD dst_unused:UNUSED_PAD src0_sel:DWORD src1_sel:WORD_1
	v_fma_f16 v23, v72, v0, v23
	v_mul_f16_sdwa v72, v73, v1 dst_sel:DWORD dst_unused:UNUSED_PAD src0_sel:DWORD src1_sel:WORD_1
	v_fma_f16 v72, v28, v1, -v72
	v_mul_f16_sdwa v28, v28, v1 dst_sel:DWORD dst_unused:UNUSED_PAD src0_sel:DWORD src1_sel:WORD_1
	v_fma_f16 v28, v73, v1, v28
	;; [unrolled: 4-line block ×4, first 2 shown]
	s_waitcnt vmcnt(0)
	v_mul_f16_sdwa v63, v76, v43 dst_sel:DWORD dst_unused:UNUSED_PAD src0_sel:DWORD src1_sel:WORD_1
	v_fma_f16 v63, v21, v43, -v63
	v_mul_f16_sdwa v21, v21, v43 dst_sel:DWORD dst_unused:UNUSED_PAD src0_sel:DWORD src1_sel:WORD_1
	v_mul_f16_sdwa v179, v156, v46 dst_sel:DWORD dst_unused:UNUSED_PAD src0_sel:DWORD src1_sel:WORD_1
	v_mul_f16_sdwa v180, v51, v46 dst_sel:DWORD dst_unused:UNUSED_PAD src0_sel:DWORD src1_sel:WORD_1
	v_fma_f16 v21, v76, v43, v21
	v_mul_f16_sdwa v76, v150, v44 dst_sel:DWORD dst_unused:UNUSED_PAD src0_sel:DWORD src1_sel:WORD_1
	v_mul_f16_sdwa v175, v154, v11 dst_sel:DWORD dst_unused:UNUSED_PAD src0_sel:DWORD src1_sel:WORD_1
	;; [unrolled: 1-line block ×3, first 2 shown]
	v_fma_f16 v55, v55, v9, -v171
	v_fma_f16 v152, v152, v9, v172
	v_fma_f16 v31, v31, v45, -v177
	v_fma_f16 v155, v155, v45, v178
	;; [unrolled: 2-line block ×3, first 2 shown]
	v_fma_f16 v76, v75, v44, -v76
	v_mul_f16_sdwa v75, v75, v44 dst_sel:DWORD dst_unused:UNUSED_PAD src0_sel:DWORD src1_sel:WORD_1
	v_fma_f16 v153, v153, v10, v174
	v_fma_f16 v53, v53, v11, -v175
	v_fma_f16 v154, v154, v11, v176
	v_fma_f16 v157, v157, v12, v170
	;; [unrolled: 1-line block ×3, first 2 shown]
	v_add_f16_e32 v150, v25, v51
	v_add_f16_e32 v170, v151, v156
	v_sub_f16_e32 v25, v25, v51
	v_sub_f16_e32 v51, v151, v156
	v_add_f16_e32 v151, v55, v31
	v_add_f16_e32 v156, v152, v155
	v_mul_f16_sdwa v171, v158, v13 dst_sel:DWORD dst_unused:UNUSED_PAD src0_sel:DWORD src1_sel:WORD_1
	v_mul_f16_sdwa v172, v56, v13 dst_sel:DWORD dst_unused:UNUSED_PAD src0_sel:DWORD src1_sel:WORD_1
	v_sub_f16_e32 v31, v55, v31
	v_sub_f16_e32 v55, v152, v155
	v_add_f16_e32 v152, v33, v53
	v_add_f16_e32 v155, v153, v154
	v_sub_f16_e32 v33, v53, v33
	v_sub_f16_e32 v53, v154, v153
	v_add_f16_e32 v153, v151, v150
	v_add_f16_e32 v154, v156, v170
	v_fma_f16 v56, v56, v13, -v171
	v_fma_f16 v158, v158, v13, v172
	v_sub_f16_e32 v171, v151, v150
	v_sub_f16_e32 v172, v156, v170
	;; [unrolled: 1-line block ×6, first 2 shown]
	v_add_f16_e32 v173, v33, v31
	v_add_f16_e32 v174, v53, v55
	v_sub_f16_e32 v175, v33, v31
	v_sub_f16_e32 v176, v53, v55
	;; [unrolled: 1-line block ×4, first 2 shown]
	v_add_f16_e32 v152, v152, v153
	v_add_f16_e32 v153, v155, v154
	v_sub_f16_e32 v33, v25, v33
	v_sub_f16_e32 v53, v51, v53
	v_add_f16_e32 v25, v173, v25
	v_add_f16_e32 v51, v174, v51
	;; [unrolled: 1-line block ×3, first 2 shown]
	v_add_f16_sdwa v155, v26, v153 dst_sel:DWORD dst_unused:UNUSED_PAD src0_sel:WORD_1 src1_sel:DWORD
	v_mul_f16_e32 v26, 0x3a52, v150
	v_mul_f16_e32 v150, 0x3a52, v170
	;; [unrolled: 1-line block ×8, first 2 shown]
	v_fma_f16 v152, v152, s16, v154
	v_fma_f16 v153, v153, s16, v155
	;; [unrolled: 1-line block ×4, first 2 shown]
	v_fma_f16 v170, v171, s17, -v170
	v_fma_f16 v173, v172, s17, -v173
	;; [unrolled: 1-line block ×4, first 2 shown]
	v_fma_f16 v171, v33, s20, v174
	v_fma_f16 v172, v53, s20, v175
	v_fma_f16 v31, v31, s14, -v174
	v_fma_f16 v55, v55, s14, -v175
	v_fma_f16 v33, v33, s21, -v176
	v_fma_f16 v53, v53, s21, -v177
	v_add_f16_e32 v151, v151, v152
	v_add_f16_e32 v170, v170, v152
	v_add_f16_e32 v173, v173, v153
	v_add_f16_e32 v26, v26, v152
	v_add_f16_e32 v150, v150, v153
	v_fma_f16 v152, v25, s18, v171
	v_fma_f16 v31, v25, s18, v31
	v_fma_f16 v55, v51, s18, v55
	v_fma_f16 v25, v25, s18, v33
	v_fma_f16 v33, v51, s18, v53
	v_add_f16_e32 v156, v156, v153
	v_fma_f16 v153, v51, s18, v172
	v_add_f16_e32 v172, v33, v26
	v_sub_f16_e32 v174, v150, v25
	v_sub_f16_e32 v175, v170, v55
	v_add_f16_e32 v176, v31, v173
	v_add_f16_e32 v55, v55, v170
	v_sub_f16_e32 v170, v173, v31
	v_sub_f16_e32 v173, v26, v33
	v_add_f16_e32 v177, v25, v150
	v_add_f16_e32 v25, v38, v161
	;; [unrolled: 1-line block ×3, first 2 shown]
	v_sub_f16_e32 v31, v38, v161
	v_add_f16_e32 v38, v56, v160
	v_add_f16_e32 v51, v158, v34
	;; [unrolled: 1-line block ×3, first 2 shown]
	v_sub_f16_e32 v171, v156, v152
	v_sub_f16_e32 v178, v151, v153
	v_add_f16_e32 v179, v152, v156
	v_sub_f16_e32 v33, v157, v52
	v_sub_f16_e32 v52, v56, v160
	;; [unrolled: 1-line block ×3, first 2 shown]
	v_add_f16_e32 v56, v169, v159
	v_add_f16_e32 v150, v36, v54
	v_sub_f16_e32 v151, v159, v169
	v_sub_f16_e32 v36, v54, v36
	v_add_f16_e32 v54, v38, v25
	v_add_f16_e32 v152, v51, v26
	v_sub_f16_e32 v153, v38, v25
	v_sub_f16_e32 v156, v51, v26
	;; [unrolled: 1-line block ×6, first 2 shown]
	v_add_f16_e32 v157, v151, v52
	v_add_f16_e32 v158, v36, v34
	v_sub_f16_e32 v159, v151, v52
	v_sub_f16_e32 v160, v36, v34
	;; [unrolled: 1-line block ×4, first 2 shown]
	v_add_f16_e32 v54, v56, v54
	v_add_f16_e32 v56, v150, v152
	v_sub_f16_e32 v151, v31, v151
	v_sub_f16_e32 v36, v33, v36
	v_add_f16_e32 v31, v157, v31
	v_add_f16_e32 v33, v158, v33
	;; [unrolled: 1-line block ×3, first 2 shown]
	v_add_f16_sdwa v158, v27, v56 dst_sel:DWORD dst_unused:UNUSED_PAD src0_sel:WORD_1 src1_sel:DWORD
	v_mul_f16_e32 v25, 0x3a52, v25
	v_mul_f16_e32 v26, 0x3a52, v26
	;; [unrolled: 1-line block ×8, first 2 shown]
	v_fma_f16 v54, v54, s16, v157
	v_fma_f16 v56, v56, s16, v158
	;; [unrolled: 1-line block ×4, first 2 shown]
	v_fma_f16 v27, v153, s17, -v27
	v_fma_f16 v150, v156, s17, -v150
	v_fma_f16 v25, v153, s19, -v25
	v_fma_f16 v26, v156, s19, -v26
	v_fma_f16 v153, v151, s20, v152
	v_fma_f16 v156, v36, s20, v159
	v_fma_f16 v52, v52, s14, -v152
	v_fma_f16 v34, v34, s14, -v159
	;; [unrolled: 1-line block ×4, first 2 shown]
	v_add_f16_e32 v38, v38, v54
	v_add_f16_e32 v51, v51, v56
	v_add_f16_e32 v27, v27, v54
	v_add_f16_e32 v150, v150, v56
	v_add_f16_e32 v25, v25, v54
	v_add_f16_e32 v26, v26, v56
	v_fma_f16 v54, v31, s18, v153
	v_fma_f16 v56, v33, s18, v156
	;; [unrolled: 1-line block ×6, first 2 shown]
	v_add_f16_e32 v160, v33, v25
	v_sub_f16_e32 v161, v26, v31
	v_sub_f16_e32 v182, v25, v33
	v_add_f16_e32 v183, v31, v26
	v_add_f16_e32 v25, v162, v167
	;; [unrolled: 1-line block ×3, first 2 shown]
	v_sub_f16_e32 v31, v39, v74
	v_add_f16_e32 v33, v163, v166
	v_add_f16_e32 v39, v32, v35
	;; [unrolled: 1-line block ×3, first 2 shown]
	v_sub_f16_e32 v159, v51, v54
	v_sub_f16_e32 v169, v27, v34
	v_add_f16_e32 v180, v52, v150
	v_add_f16_e32 v34, v34, v27
	v_sub_f16_e32 v181, v150, v52
	v_sub_f16_e32 v38, v38, v56
	v_add_f16_e32 v54, v54, v51
	v_sub_f16_e32 v27, v162, v167
	v_sub_f16_e32 v51, v163, v166
	;; [unrolled: 1-line block ×3, first 2 shown]
	v_add_f16_e32 v35, v164, v165
	v_add_f16_e32 v52, v37, v30
	v_sub_f16_e32 v56, v165, v164
	v_sub_f16_e32 v30, v30, v37
	v_add_f16_e32 v37, v33, v25
	v_add_f16_e32 v74, v39, v26
	v_sub_f16_e32 v150, v33, v25
	v_sub_f16_e32 v151, v39, v26
	;; [unrolled: 1-line block ×6, first 2 shown]
	v_add_f16_e32 v152, v56, v51
	v_add_f16_e32 v153, v30, v32
	v_sub_f16_e32 v156, v56, v51
	v_sub_f16_e32 v162, v30, v32
	;; [unrolled: 1-line block ×4, first 2 shown]
	v_add_f16_e32 v35, v35, v37
	v_add_f16_e32 v37, v52, v74
	v_sub_f16_e32 v56, v27, v56
	v_sub_f16_e32 v30, v31, v30
	v_add_f16_e32 v27, v152, v27
	v_add_f16_e32 v31, v153, v31
	;; [unrolled: 1-line block ×3, first 2 shown]
	v_add_f16_sdwa v163, v24, v37 dst_sel:DWORD dst_unused:UNUSED_PAD src0_sel:WORD_1 src1_sel:DWORD
	v_mul_f16_e32 v24, 0x3a52, v25
	v_mul_f16_e32 v25, 0x3a52, v26
	;; [unrolled: 1-line block ×8, first 2 shown]
	v_fma_f16 v35, v35, s16, v74
	v_fma_f16 v37, v37, s16, v163
	;; [unrolled: 1-line block ×4, first 2 shown]
	v_fma_f16 v26, v150, s17, -v26
	v_fma_f16 v52, v151, s17, -v52
	;; [unrolled: 1-line block ×4, first 2 shown]
	v_fma_f16 v150, v56, s20, v152
	v_fma_f16 v151, v30, s20, v153
	v_fma_f16 v51, v51, s14, -v152
	v_fma_f16 v56, v56, s21, -v156
	;; [unrolled: 1-line block ×4, first 2 shown]
	v_add_f16_e32 v33, v33, v35
	v_add_f16_e32 v26, v26, v35
	;; [unrolled: 1-line block ×4, first 2 shown]
	v_fma_f16 v35, v27, s18, v150
	v_fma_f16 v51, v27, s18, v51
	;; [unrolled: 1-line block ×4, first 2 shown]
	v_add_f16_e32 v39, v39, v37
	v_add_f16_e32 v52, v52, v37
	v_fma_f16 v37, v31, s18, v151
	v_fma_f16 v32, v31, s18, v32
	v_add_f16_e32 v164, v30, v24
	v_sub_f16_e32 v165, v25, v27
	v_sub_f16_e32 v186, v24, v30
	v_add_f16_e32 v187, v27, v25
	v_add_f16_e32 v24, v168, v76
	;; [unrolled: 1-line block ×6, first 2 shown]
	v_sub_f16_e32 v162, v39, v35
	v_sub_f16_e32 v166, v26, v32
	v_add_f16_e32 v184, v32, v26
	v_sub_f16_e32 v37, v33, v37
	v_add_f16_e32 v35, v35, v39
	v_sub_f16_e32 v26, v168, v76
	v_sub_f16_e32 v23, v23, v75
	;; [unrolled: 1-line block ×4, first 2 shown]
	v_add_f16_e32 v28, v73, v71
	v_add_f16_e32 v32, v29, v20
	v_sub_f16_e32 v33, v71, v73
	v_sub_f16_e32 v20, v20, v29
	v_add_f16_e32 v29, v27, v24
	v_add_f16_e32 v39, v30, v25
	;; [unrolled: 1-line block ×3, first 2 shown]
	v_sub_f16_e32 v185, v52, v51
	v_sub_f16_e32 v51, v27, v24
	;; [unrolled: 1-line block ×7, first 2 shown]
	v_add_f16_e32 v63, v33, v31
	v_add_f16_e32 v71, v20, v21
	v_sub_f16_e32 v72, v33, v31
	v_sub_f16_e32 v73, v20, v21
	;; [unrolled: 1-line block ×4, first 2 shown]
	v_add_f16_e32 v28, v28, v29
	v_add_f16_e32 v29, v32, v39
	v_sub_f16_e32 v33, v26, v33
	v_sub_f16_e32 v75, v23, v20
	v_add_f16_e32 v32, v63, v26
	v_add_f16_e32 v39, v71, v23
	;; [unrolled: 1-line block ×4, first 2 shown]
	v_mul_f16_e32 v22, 0x3a52, v24
	v_mul_f16_e32 v23, 0x3a52, v25
	;; [unrolled: 1-line block ×8, first 2 shown]
	v_fma_f16 v72, v28, s16, v20
	v_fma_f16 v29, v29, s16, v21
	;; [unrolled: 1-line block ×4, first 2 shown]
	v_fma_f16 v24, v51, s17, -v24
	v_fma_f16 v25, v52, s17, -v25
	;; [unrolled: 1-line block ×4, first 2 shown]
	v_fma_f16 v52, v33, s20, v26
	v_fma_f16 v73, v75, s20, v63
	v_fma_f16 v31, v31, s14, -v26
	v_fma_f16 v63, v76, s14, -v63
	;; [unrolled: 1-line block ×4, first 2 shown]
	v_add_f16_e32 v22, v27, v72
	v_add_f16_e32 v23, v28, v29
	v_add_f16_e32 v28, v25, v29
	v_add_f16_e32 v25, v30, v72
	v_fma_f16 v26, v32, s18, v52
	v_fma_f16 v27, v39, s18, v73
	;; [unrolled: 1-line block ×6, first 2 shown]
	v_mov_b32_e32 v39, 0x118
	v_cndmask_b32_e32 v39, 0, v39, vcc
	v_add_lshl_u32 v153, v65, v39, 2
	v_pack_b32_f16 v39, v154, v155
	v_pack_b32_f16 v53, v53, v171
	ds_write2_b32 v153, v39, v53 offset1:40
	v_pack_b32_f16 v39, v172, v174
	v_pack_b32_f16 v53, v175, v176
	ds_write2_b32 v153, v39, v53 offset0:80 offset1:120
	v_pack_b32_f16 v39, v55, v170
	v_pack_b32_f16 v53, v173, v177
	ds_write2_b32 v153, v39, v53 offset0:160 offset1:200
	v_pack_b32_f16 v39, v178, v179
	ds_write_b32 v153, v39 offset:960
	v_mul_u32_u24_e32 v39, 0x118, v66
	v_add_lshl_u32 v154, v39, v67, 2
	v_pack_b32_f16 v39, v157, v158
	v_pack_b32_f16 v36, v36, v159
	ds_write2_b32 v154, v39, v36 offset1:40
	v_pack_b32_f16 v36, v160, v161
	v_pack_b32_f16 v39, v169, v180
	ds_write2_b32 v154, v36, v39 offset0:80 offset1:120
	v_pack_b32_f16 v34, v34, v181
	v_pack_b32_f16 v36, v182, v183
	ds_write2_b32 v154, v34, v36 offset0:160 offset1:200
	v_pack_b32_f16 v34, v38, v54
	ds_write_b32 v154, v34 offset:960
	v_mul_u32_u24_e32 v34, 0x118, v68
	v_add_lshl_u32 v155, v34, v69, 2
	v_pack_b32_f16 v34, v74, v163
	v_pack_b32_f16 v36, v56, v162
	ds_write2_b32 v155, v34, v36 offset1:40
	v_pack_b32_f16 v34, v164, v165
	v_pack_b32_f16 v36, v166, v167
	v_add_f16_e32 v24, v24, v72
	v_add_f16_e32 v29, v51, v29
	ds_write2_b32 v155, v34, v36 offset0:80 offset1:120
	v_pack_b32_f16 v34, v184, v185
	v_pack_b32_f16 v36, v186, v187
	v_add_f16_e32 v51, v31, v24
	v_sub_f16_e32 v156, v28, v30
	v_sub_f16_e32 v52, v25, v33
	v_add_f16_e32 v150, v32, v29
	v_sub_f16_e32 v151, v22, v27
	v_add_f16_e32 v152, v26, v23
	ds_write2_b32 v155, v34, v36 offset0:160 offset1:200
	v_pack_b32_f16 v34, v37, v35
	ds_write_b32 v155, v34 offset:960
	s_and_saveexec_b64 s[14:15], s[2:3]
	s_cbranch_execz .LBB0_19
; %bb.18:
	v_sub_f16_e32 v23, v23, v26
	v_add_f16_e32 v22, v27, v22
	v_lshlrev_b32_e32 v26, 2, v70
	s_mov_b32 s16, 0x5040100
	v_add_f16_e32 v28, v30, v28
	v_sub_f16_e32 v24, v24, v31
	v_sub_f16_e32 v29, v29, v32
	v_add_f16_e32 v25, v33, v25
	v_perm_b32 v20, v21, v20, s16
	v_pack_b32_f16 v21, v22, v23
	v_add_u32_e32 v22, 0x1000, v26
	ds_write2_b32 v22, v20, v21 offset0:96 offset1:136
	v_pack_b32_f16 v20, v25, v29
	v_pack_b32_f16 v21, v24, v28
	ds_write2_b32 v22, v20, v21 offset0:176 offset1:216
	v_perm_b32 v20, v156, v51, s16
	v_perm_b32 v21, v150, v52, s16
	v_add_u32_e32 v22, 0x1400, v26
	ds_write2_b32 v22, v20, v21 offset1:40
	v_perm_b32 v20, v152, v151, s16
	ds_write_b32 v26, v20 offset:5440
.LBB0_19:
	s_or_b64 exec, exec, s[14:15]
	v_lshlrev_b32_e32 v20, 4, v101
	s_waitcnt lgkmcnt(0)
	; wave barrier
	s_waitcnt lgkmcnt(0)
	global_load_dwordx4 v[20:23], v20, s[4:5] offset:1112
	v_lshlrev_b32_e32 v24, 4, v62
	global_load_dwordx4 v[24:27], v24, s[4:5] offset:1112
	v_lshlrev_b32_e32 v28, 4, v61
	global_load_dwordx4 v[28:31], v28, s[4:5] offset:1112
	v_add_u32_e32 v55, 0x200, v77
	v_lshlrev_b32_e32 v34, 4, v60
	ds_read2_b32 v[53:54], v77 offset1:56
	v_add_u32_e32 v75, 0x800, v77
	v_add_u32_e32 v69, 0xc00, v77
	;; [unrolled: 1-line block ×4, first 2 shown]
	ds_read2_b32 v[62:63], v77 offset0:112 offset1:168
	ds_read_b32 v68, v77 offset:5376
	ds_read2_b32 v[64:65], v55 offset0:96 offset1:152
	ds_read2_b32 v[66:67], v75 offset0:48 offset1:104
	;; [unrolled: 1-line block ×5, first 2 shown]
	global_load_dwordx4 v[36:39], v34, s[4:5] offset:1112
	v_lshlrev_b32_e32 v32, 2, v101
	v_mov_b32_e32 v33, s13
	v_lshlrev_b32_e32 v35, 4, v59
	v_add_co_u32_e32 v59, vcc, s12, v32
	v_add_u32_e32 v76, 0x1200, v77
	v_add_u32_e32 v61, 0xe00, v77
	v_addc_co_u32_e32 v60, vcc, 0, v33, vcc
	ds_read2_b32 v[161:162], v69 offset0:128 offset1:184
	ds_read2_b32 v[163:164], v75 offset0:160 offset1:216
	;; [unrolled: 1-line block ×5, first 2 shown]
	global_load_dwordx4 v[32:35], v35, s[4:5] offset:1112
	s_waitcnt lgkmcnt(9)
	v_lshrrev_b32_e32 v174, 16, v65
	s_waitcnt lgkmcnt(8)
	v_lshrrev_b32_e32 v179, 16, v67
	;; [unrolled: 2-line block ×3, first 2 shown]
	v_lshrrev_b32_e32 v181, 16, v158
	v_lshrrev_b32_e32 v182, 16, v160
	s_waitcnt lgkmcnt(3)
	v_lshrrev_b32_e32 v183, 16, v163
	v_lshrrev_b32_e32 v184, 16, v162
	s_waitcnt lgkmcnt(2)
	v_lshrrev_b32_e32 v185, 16, v165
	s_waitcnt lgkmcnt(1)
	v_lshrrev_b32_e32 v186, 16, v167
	v_lshrrev_b32_e32 v187, 16, v164
	s_waitcnt lgkmcnt(0)
	v_lshrrev_b32_e32 v188, 16, v169
	v_lshrrev_b32_e32 v189, 16, v166
	;; [unrolled: 1-line block ×8, first 2 shown]
	s_movk_i32 s5, 0x3b9c
	s_mov_b32 s14, 0xbb9c
	v_lshrrev_b32_e32 v173, 16, v68
	s_movk_i32 s4, 0x38b4
	s_mov_b32 s15, 0xb8b4
	s_movk_i32 s12, 0x34f2
	v_lshrrev_b32_e32 v72, 16, v53
	v_lshrrev_b32_e32 v178, 16, v159
	;; [unrolled: 1-line block ×6, first 2 shown]
	s_movk_i32 s13, 0x1000
	s_waitcnt vmcnt(4)
	v_mul_f16_sdwa v194, v174, v20 dst_sel:DWORD dst_unused:UNUSED_PAD src0_sel:DWORD src1_sel:WORD_1
	v_mul_f16_sdwa v195, v65, v20 dst_sel:DWORD dst_unused:UNUSED_PAD src0_sel:DWORD src1_sel:WORD_1
	v_fma_f16 v65, v65, v20, -v194
	s_waitcnt vmcnt(3)
	v_mul_f16_sdwa v194, v179, v25 dst_sel:DWORD dst_unused:UNUSED_PAD src0_sel:DWORD src1_sel:WORD_1
	v_fma_f16 v194, v67, v25, -v194
	v_mul_f16_sdwa v67, v67, v25 dst_sel:DWORD dst_unused:UNUSED_PAD src0_sel:DWORD src1_sel:WORD_1
	v_fma_f16 v67, v179, v25, v67
	v_mul_f16_sdwa v179, v180, v26 dst_sel:DWORD dst_unused:UNUSED_PAD src0_sel:DWORD src1_sel:WORD_1
	v_fma_f16 v179, v161, v26, -v179
	v_mul_f16_sdwa v161, v161, v26 dst_sel:DWORD dst_unused:UNUSED_PAD src0_sel:DWORD src1_sel:WORD_1
	v_fma_f16 v161, v180, v26, v161
	;; [unrolled: 4-line block ×3, first 2 shown]
	s_waitcnt vmcnt(2)
	v_mul_f16_sdwa v181, v182, v28 dst_sel:DWORD dst_unused:UNUSED_PAD src0_sel:DWORD src1_sel:WORD_1
	v_fma_f16 v181, v160, v28, -v181
	v_mul_f16_sdwa v160, v160, v28 dst_sel:DWORD dst_unused:UNUSED_PAD src0_sel:DWORD src1_sel:WORD_1
	v_fma_f16 v160, v182, v28, v160
	v_mul_f16_sdwa v182, v183, v29 dst_sel:DWORD dst_unused:UNUSED_PAD src0_sel:DWORD src1_sel:WORD_1
	v_fma_f16 v182, v163, v29, -v182
	v_mul_f16_sdwa v163, v163, v29 dst_sel:DWORD dst_unused:UNUSED_PAD src0_sel:DWORD src1_sel:WORD_1
	v_fma_f16 v163, v183, v29, v163
	;; [unrolled: 4-line block ×4, first 2 shown]
	s_waitcnt vmcnt(1)
	v_mul_f16_sdwa v185, v186, v36 dst_sel:DWORD dst_unused:UNUSED_PAD src0_sel:DWORD src1_sel:WORD_1
	v_fma_f16 v185, v167, v36, -v185
	v_mul_f16_sdwa v167, v167, v36 dst_sel:DWORD dst_unused:UNUSED_PAD src0_sel:DWORD src1_sel:WORD_1
	v_fma_f16 v167, v186, v36, v167
	v_mul_f16_sdwa v186, v187, v37 dst_sel:DWORD dst_unused:UNUSED_PAD src0_sel:DWORD src1_sel:WORD_1
	v_fma_f16 v186, v164, v37, -v186
	v_mul_f16_sdwa v164, v164, v37 dst_sel:DWORD dst_unused:UNUSED_PAD src0_sel:DWORD src1_sel:WORD_1
	v_fma_f16 v164, v187, v37, v164
	;; [unrolled: 4-line block ×4, first 2 shown]
	s_waitcnt vmcnt(0)
	v_mul_f16_sdwa v189, v191, v32 dst_sel:DWORD dst_unused:UNUSED_PAD src0_sel:DWORD src1_sel:WORD_1
	v_mul_f16_sdwa v196, v175, v21 dst_sel:DWORD dst_unused:UNUSED_PAD src0_sel:DWORD src1_sel:WORD_1
	v_mul_f16_sdwa v198, v176, v22 dst_sel:DWORD dst_unused:UNUSED_PAD src0_sel:DWORD src1_sel:WORD_1
	v_fma_f16 v189, v168, v32, -v189
	v_mul_f16_sdwa v168, v168, v32 dst_sel:DWORD dst_unused:UNUSED_PAD src0_sel:DWORD src1_sel:WORD_1
	v_mul_f16_sdwa v197, v66, v21 dst_sel:DWORD dst_unused:UNUSED_PAD src0_sel:DWORD src1_sel:WORD_1
	;; [unrolled: 1-line block ×4, first 2 shown]
	v_fma_f16 v66, v66, v21, -v196
	v_fma_f16 v71, v71, v22, -v198
	v_fma_f16 v168, v191, v32, v168
	v_mul_f16_sdwa v191, v192, v33 dst_sel:DWORD dst_unused:UNUSED_PAD src0_sel:DWORD src1_sel:WORD_1
	v_mul_f16_sdwa v200, v177, v23 dst_sel:DWORD dst_unused:UNUSED_PAD src0_sel:DWORD src1_sel:WORD_1
	v_fma_f16 v174, v174, v20, v195
	v_fma_f16 v177, v177, v23, v201
	v_fma_f16 v191, v70, v33, -v191
	v_mul_f16_sdwa v70, v70, v33 dst_sel:DWORD dst_unused:UNUSED_PAD src0_sel:DWORD src1_sel:WORD_1
	v_add_f16_e32 v195, v66, v71
	v_fma_f16 v175, v175, v21, v197
	v_fma_f16 v176, v176, v22, v199
	v_fma_f16 v157, v157, v23, -v200
	v_fma_f16 v70, v192, v33, v70
	v_mul_f16_sdwa v192, v193, v34 dst_sel:DWORD dst_unused:UNUSED_PAD src0_sel:DWORD src1_sel:WORD_1
	v_fma_f16 v195, v195, -0.5, v53
	v_sub_f16_e32 v196, v174, v177
	v_fma_f16 v192, v170, v34, -v192
	v_mul_f16_sdwa v170, v170, v34 dst_sel:DWORD dst_unused:UNUSED_PAD src0_sel:DWORD src1_sel:WORD_1
	v_fma_f16 v197, v196, s5, v195
	v_sub_f16_e32 v198, v175, v176
	v_sub_f16_e32 v199, v65, v66
	v_sub_f16_e32 v200, v157, v71
	v_fma_f16 v195, v196, s14, v195
	v_fma_f16 v170, v193, v34, v170
	v_mul_f16_sdwa v193, v173, v35 dst_sel:DWORD dst_unused:UNUSED_PAD src0_sel:DWORD src1_sel:WORD_1
	v_fma_f16 v197, v198, s4, v197
	v_add_f16_e32 v199, v199, v200
	v_fma_f16 v195, v198, s15, v195
	v_fma_f16 v193, v68, v35, -v193
	v_mul_f16_sdwa v68, v68, v35 dst_sel:DWORD dst_unused:UNUSED_PAD src0_sel:DWORD src1_sel:WORD_1
	v_fma_f16 v197, v199, s12, v197
	v_fma_f16 v195, v199, s12, v195
	v_add_f16_e32 v199, v65, v157
	v_fma_f16 v68, v173, v35, v68
	v_add_f16_e32 v173, v53, v65
	v_fma_f16 v53, v199, -0.5, v53
	v_add_f16_e32 v173, v173, v66
	v_fma_f16 v199, v198, s14, v53
	v_fma_f16 v53, v198, s5, v53
	v_add_f16_e32 v198, v175, v176
	v_add_f16_e32 v173, v173, v71
	v_sub_f16_e32 v200, v66, v65
	v_sub_f16_e32 v201, v71, v157
	v_fma_f16 v198, v198, -0.5, v72
	v_sub_f16_e32 v65, v65, v157
	v_add_f16_e32 v173, v173, v157
	v_fma_f16 v199, v196, s4, v199
	v_add_f16_e32 v200, v200, v201
	v_fma_f16 v53, v196, s15, v53
	v_fma_f16 v157, v65, s14, v198
	v_sub_f16_e32 v66, v66, v71
	v_fma_f16 v199, v200, s12, v199
	v_fma_f16 v53, v200, s12, v53
	;; [unrolled: 1-line block ×3, first 2 shown]
	v_sub_f16_e32 v157, v174, v175
	v_sub_f16_e32 v200, v177, v176
	v_fma_f16 v198, v65, s5, v198
	v_add_f16_e32 v157, v157, v200
	v_fma_f16 v198, v66, s4, v198
	v_fma_f16 v71, v157, s12, v71
	;; [unrolled: 1-line block ×3, first 2 shown]
	v_add_f16_e32 v157, v174, v177
	v_add_f16_e32 v196, v72, v174
	v_fma_f16 v72, v157, -0.5, v72
	v_mul_f16_sdwa v203, v159, v24 dst_sel:DWORD dst_unused:UNUSED_PAD src0_sel:DWORD src1_sel:WORD_1
	v_add_f16_e32 v196, v196, v175
	v_fma_f16 v157, v66, s5, v72
	v_sub_f16_e32 v174, v175, v174
	v_sub_f16_e32 v175, v176, v177
	v_mul_f16_sdwa v202, v178, v24 dst_sel:DWORD dst_unused:UNUSED_PAD src0_sel:DWORD src1_sel:WORD_1
	v_fma_f16 v178, v178, v24, v203
	v_fma_f16 v157, v65, s15, v157
	v_add_f16_e32 v174, v174, v175
	v_fma_f16 v66, v66, s14, v72
	v_add_f16_e32 v72, v194, v179
	v_fma_f16 v159, v159, v24, -v202
	v_add_f16_e32 v196, v196, v176
	v_fma_f16 v175, v174, s12, v157
	v_fma_f16 v65, v65, s4, v66
	v_fma_f16 v72, v72, -0.5, v54
	v_sub_f16_e32 v157, v178, v158
	v_add_f16_e32 v196, v196, v177
	v_fma_f16 v65, v174, s12, v65
	v_fma_f16 v174, v157, s5, v72
	v_sub_f16_e32 v176, v67, v161
	v_sub_f16_e32 v177, v159, v194
	;; [unrolled: 1-line block ×3, first 2 shown]
	v_fma_f16 v72, v157, s14, v72
	v_fma_f16 v174, v176, s4, v174
	v_add_f16_e32 v177, v177, v200
	v_fma_f16 v72, v176, s15, v72
	v_fma_f16 v174, v177, s12, v174
	;; [unrolled: 1-line block ×3, first 2 shown]
	v_add_f16_e32 v177, v159, v180
	v_add_f16_e32 v66, v54, v159
	v_fma_f16 v54, v177, -0.5, v54
	v_fma_f16 v177, v176, s14, v54
	v_fma_f16 v54, v176, s5, v54
	;; [unrolled: 1-line block ×4, first 2 shown]
	v_add_f16_e32 v157, v74, v178
	v_add_f16_e32 v157, v157, v67
	v_add_f16_e32 v157, v157, v161
	v_add_f16_e32 v66, v66, v194
	v_sub_f16_e32 v200, v194, v159
	v_sub_f16_e32 v201, v179, v180
	v_add_f16_e32 v176, v157, v158
	v_add_f16_e32 v157, v67, v161
	;; [unrolled: 1-line block ×4, first 2 shown]
	v_fma_f16 v157, v157, -0.5, v74
	v_sub_f16_e32 v159, v159, v180
	v_add_f16_e32 v66, v66, v180
	v_fma_f16 v177, v200, s12, v177
	v_fma_f16 v54, v200, s12, v54
	;; [unrolled: 1-line block ×3, first 2 shown]
	v_sub_f16_e32 v179, v194, v179
	v_sub_f16_e32 v194, v178, v67
	;; [unrolled: 1-line block ×3, first 2 shown]
	v_fma_f16 v157, v159, s5, v157
	v_fma_f16 v180, v179, s15, v180
	v_add_f16_e32 v194, v194, v200
	v_fma_f16 v157, v179, s4, v157
	v_fma_f16 v180, v194, s12, v180
	;; [unrolled: 1-line block ×3, first 2 shown]
	v_add_f16_e32 v157, v178, v158
	v_fma_f16 v74, v157, -0.5, v74
	v_fma_f16 v157, v179, s5, v74
	v_sub_f16_e32 v67, v67, v178
	v_sub_f16_e32 v158, v161, v158
	v_fma_f16 v157, v159, s15, v157
	v_add_f16_e32 v67, v67, v158
	v_fma_f16 v161, v67, s12, v157
	v_add_f16_e32 v157, v182, v183
	v_fma_f16 v74, v179, s14, v74
	v_fma_f16 v157, v157, -0.5, v62
	v_sub_f16_e32 v158, v160, v165
	v_fma_f16 v74, v159, s4, v74
	v_fma_f16 v159, v158, s5, v157
	v_sub_f16_e32 v178, v163, v162
	v_sub_f16_e32 v179, v181, v182
	;; [unrolled: 1-line block ×3, first 2 shown]
	v_fma_f16 v157, v158, s14, v157
	v_fma_f16 v159, v178, s4, v159
	v_add_f16_e32 v179, v179, v200
	v_fma_f16 v157, v178, s15, v157
	v_fma_f16 v159, v179, s12, v159
	;; [unrolled: 1-line block ×3, first 2 shown]
	v_add_f16_e32 v157, v181, v184
	v_fma_f16 v67, v67, s12, v74
	v_add_f16_e32 v74, v62, v181
	v_fma_f16 v62, v157, -0.5, v62
	v_fma_f16 v157, v178, s14, v62
	v_sub_f16_e32 v200, v182, v181
	v_sub_f16_e32 v201, v183, v184
	v_fma_f16 v157, v158, s4, v157
	v_add_f16_e32 v200, v200, v201
	v_fma_f16 v201, v200, s12, v157
	v_add_f16_e32 v157, v171, v160
	v_add_f16_e32 v157, v157, v163
	v_add_f16_e32 v157, v157, v162
	v_add_f16_e32 v74, v74, v182
	v_fma_f16 v62, v178, s5, v62
	v_add_f16_e32 v178, v157, v165
	v_add_f16_e32 v157, v163, v162
	;; [unrolled: 1-line block ×3, first 2 shown]
	v_fma_f16 v62, v158, s15, v62
	v_fma_f16 v157, v157, -0.5, v171
	v_sub_f16_e32 v158, v181, v184
	v_add_f16_e32 v74, v74, v184
	v_fma_f16 v181, v158, s14, v157
	v_sub_f16_e32 v182, v182, v183
	v_sub_f16_e32 v183, v160, v163
	;; [unrolled: 1-line block ×3, first 2 shown]
	v_fma_f16 v157, v158, s5, v157
	v_fma_f16 v181, v182, s15, v181
	v_add_f16_e32 v183, v183, v184
	v_fma_f16 v157, v182, s4, v157
	v_fma_f16 v181, v183, s12, v181
	;; [unrolled: 1-line block ×3, first 2 shown]
	v_add_f16_e32 v157, v160, v165
	v_fma_f16 v157, v157, -0.5, v171
	v_fma_f16 v171, v182, s5, v157
	v_sub_f16_e32 v160, v163, v160
	v_sub_f16_e32 v162, v162, v165
	v_fma_f16 v157, v182, s14, v157
	v_fma_f16 v171, v158, s15, v171
	v_add_f16_e32 v160, v160, v162
	v_fma_f16 v157, v158, s4, v157
	v_fma_f16 v162, v160, s12, v171
	;; [unrolled: 1-line block ×3, first 2 shown]
	v_add_f16_e32 v157, v63, v185
	v_add_f16_e32 v157, v157, v186
	;; [unrolled: 1-line block ×5, first 2 shown]
	v_fma_f16 v157, v157, -0.5, v63
	v_sub_f16_e32 v158, v167, v166
	v_fma_f16 v165, v158, s5, v157
	v_sub_f16_e32 v171, v164, v169
	v_sub_f16_e32 v182, v185, v186
	;; [unrolled: 1-line block ×3, first 2 shown]
	v_fma_f16 v157, v158, s14, v157
	v_fma_f16 v165, v171, s4, v165
	v_add_f16_e32 v182, v182, v184
	v_fma_f16 v157, v171, s15, v157
	v_fma_f16 v165, v182, s12, v165
	;; [unrolled: 1-line block ×3, first 2 shown]
	v_add_f16_e32 v157, v185, v188
	v_fma_f16 v63, v157, -0.5, v63
	v_fma_f16 v62, v200, s12, v62
	v_fma_f16 v157, v171, s14, v63
	v_sub_f16_e32 v184, v186, v185
	v_sub_f16_e32 v200, v187, v188
	v_fma_f16 v157, v158, s4, v157
	v_add_f16_e32 v184, v184, v200
	v_fma_f16 v200, v184, s12, v157
	v_add_f16_e32 v157, v172, v167
	v_add_f16_e32 v157, v157, v164
	v_add_f16_e32 v157, v157, v169
	v_fma_f16 v63, v171, s5, v63
	v_add_f16_e32 v171, v157, v166
	v_add_f16_e32 v157, v164, v169
	v_fma_f16 v63, v158, s15, v63
	v_fma_f16 v157, v157, -0.5, v172
	v_sub_f16_e32 v158, v185, v188
	v_fma_f16 v63, v184, s12, v63
	v_fma_f16 v184, v158, s14, v157
	v_sub_f16_e32 v185, v186, v187
	v_sub_f16_e32 v186, v167, v164
	;; [unrolled: 1-line block ×3, first 2 shown]
	v_fma_f16 v157, v158, s5, v157
	v_fma_f16 v184, v185, s15, v184
	v_add_f16_e32 v186, v186, v187
	v_fma_f16 v157, v185, s4, v157
	v_fma_f16 v184, v186, s12, v184
	;; [unrolled: 1-line block ×3, first 2 shown]
	v_add_f16_e32 v157, v167, v166
	v_fma_f16 v157, v157, -0.5, v172
	v_fma_f16 v172, v185, s5, v157
	v_sub_f16_e32 v164, v164, v167
	v_sub_f16_e32 v166, v169, v166
	v_fma_f16 v157, v185, s14, v157
	v_fma_f16 v172, v158, s15, v172
	v_add_f16_e32 v164, v164, v166
	v_fma_f16 v157, v158, s4, v157
	v_fma_f16 v166, v164, s12, v172
	;; [unrolled: 1-line block ×3, first 2 shown]
	v_add_f16_e32 v157, v64, v189
	v_add_f16_e32 v157, v157, v191
	;; [unrolled: 1-line block ×5, first 2 shown]
	v_fma_f16 v157, v157, -0.5, v64
	v_sub_f16_e32 v158, v168, v68
	v_fma_f16 v169, v158, s5, v157
	v_sub_f16_e32 v172, v70, v170
	v_sub_f16_e32 v185, v189, v191
	;; [unrolled: 1-line block ×3, first 2 shown]
	v_fma_f16 v157, v158, s14, v157
	v_fma_f16 v169, v172, s4, v169
	v_add_f16_e32 v185, v185, v187
	v_fma_f16 v157, v172, s15, v157
	v_fma_f16 v169, v185, s12, v169
	;; [unrolled: 1-line block ×3, first 2 shown]
	v_add_f16_e32 v185, v189, v193
	v_fma_f16 v64, v185, -0.5, v64
	v_fma_f16 v185, v172, s14, v64
	v_fma_f16 v64, v172, s5, v64
	;; [unrolled: 1-line block ×4, first 2 shown]
	v_add_f16_e32 v158, v190, v168
	v_add_f16_e32 v158, v158, v70
	v_sub_f16_e32 v187, v191, v189
	v_sub_f16_e32 v188, v192, v193
	v_add_f16_e32 v158, v158, v170
	v_add_f16_e32 v187, v187, v188
	v_add_f16_e32 v172, v158, v68
	v_add_f16_e32 v158, v70, v170
	v_fma_f16 v185, v187, s12, v185
	v_fma_f16 v64, v187, s12, v64
	v_fma_f16 v158, v158, -0.5, v190
	v_sub_f16_e32 v187, v189, v193
	v_fma_f16 v188, v187, s14, v158
	v_sub_f16_e32 v189, v191, v192
	v_sub_f16_e32 v191, v168, v70
	;; [unrolled: 1-line block ×3, first 2 shown]
	v_fma_f16 v158, v187, s5, v158
	v_fma_f16 v188, v189, s15, v188
	v_add_f16_e32 v191, v191, v192
	v_fma_f16 v158, v189, s4, v158
	v_fma_f16 v188, v191, s12, v188
	;; [unrolled: 1-line block ×3, first 2 shown]
	v_add_f16_e32 v191, v168, v68
	v_fma_f16 v190, v191, -0.5, v190
	v_fma_f16 v191, v189, s5, v190
	v_sub_f16_e32 v70, v70, v168
	v_sub_f16_e32 v68, v170, v68
	v_fma_f16 v168, v189, s14, v190
	v_pack_b32_f16 v53, v53, v65
	v_fma_f16 v191, v187, s15, v191
	v_add_f16_e32 v68, v70, v68
	v_fma_f16 v168, v187, s4, v168
	v_pack_b32_f16 v71, v197, v71
	ds_write_b32 v77, v53 offset:3360
	v_pack_b32_f16 v53, v195, v198
	v_fma_f16 v70, v68, s12, v191
	v_fma_f16 v68, v68, s12, v168
	v_pack_b32_f16 v168, v173, v196
	ds_write_b32 v77, v71 offset:1120
	v_pack_b32_f16 v71, v199, v175
	ds_write_b32 v77, v53 offset:4480
	v_pack_b32_f16 v53, v66, v176
	ds_write_b32 v77, v71 offset:2240
	ds_write2_b32 v77, v168, v53 offset1:56
	v_pack_b32_f16 v53, v174, v180
	v_pack_b32_f16 v71, v159, v181
	;; [unrolled: 1-line block ×3, first 2 shown]
	ds_write2_b32 v56, v53, v71 offset0:80 offset1:136
	v_pack_b32_f16 v53, v201, v162
	v_pack_b32_f16 v54, v54, v67
	ds_write2_b32 v75, v65, v53 offset0:104 offset1:160
	v_pack_b32_f16 v53, v62, v160
	v_pack_b32_f16 v66, v72, v194
	ds_write2_b32 v69, v54, v53 offset0:128 offset1:184
	v_pack_b32_f16 v53, v179, v183
	v_pack_b32_f16 v67, v74, v178
	ds_write2_b32 v73, v66, v53 offset0:152 offset1:208
	v_pack_b32_f16 v53, v163, v171
	v_pack_b32_f16 v54, v200, v166
	ds_write2_b32 v77, v67, v53 offset0:112 offset1:168
	ds_write_b32 v77, v54 offset:2912
	v_pack_b32_f16 v54, v63, v164
	ds_write_b32 v77, v54 offset:4032
	v_pack_b32_f16 v54, v182, v186
	;; [unrolled: 2-line block ×3, first 2 shown]
	v_pack_b32_f16 v53, v165, v184
	ds_write_b32 v77, v54 offset:896
	v_pack_b32_f16 v54, v169, v188
	ds_write2_b32 v56, v53, v54 offset0:192 offset1:248
	v_pack_b32_f16 v53, v185, v70
	ds_write_b32 v77, v53 offset:3136
	v_pack_b32_f16 v53, v64, v68
	ds_write_b32 v77, v53 offset:4256
	;; [unrolled: 2-line block ×3, first 2 shown]
	v_add_co_u32_e32 v53, vcc, s13, v59
	v_addc_co_u32_e32 v54, vcc, 0, v60, vcc
	s_waitcnt lgkmcnt(0)
	; wave barrier
	s_waitcnt lgkmcnt(0)
	global_load_dword v64, v[53:54], off offset:1504
	s_movk_i32 s4, 0x15e0
	v_add_co_u32_e32 v53, vcc, s4, v59
	v_addc_co_u32_e32 v54, vcc, 0, v60, vcc
	global_load_dword v65, v[53:54], off offset:2800
	global_load_dword v66, v[53:54], off offset:224
	;; [unrolled: 1-line block ×7, first 2 shown]
	ds_read2_b32 v[62:63], v77 offset1:56
	global_load_dword v159, v[53:54], off offset:896
	global_load_dword v160, v[53:54], off offset:3696
	s_movk_i32 s4, 0x2000
	v_add_co_u32_e32 v59, vcc, s4, v59
	v_addc_co_u32_e32 v60, vcc, 0, v60, vcc
	global_load_dword v161, v[59:60], off offset:1552
	global_load_dword v162, v[59:60], off offset:1776
	;; [unrolled: 1-line block ×8, first 2 shown]
	s_waitcnt lgkmcnt(0)
	v_lshrrev_b32_e32 v74, 16, v62
	s_waitcnt vmcnt(17)
	v_mul_f16_sdwa v59, v74, v64 dst_sel:DWORD dst_unused:UNUSED_PAD src0_sel:DWORD src1_sel:WORD_1
	v_mul_f16_sdwa v60, v62, v64 dst_sel:DWORD dst_unused:UNUSED_PAD src0_sel:DWORD src1_sel:WORD_1
	v_fma_f16 v59, v62, v64, -v59
	v_fma_f16 v60, v74, v64, v60
	v_pack_b32_f16 v59, v59, v60
	ds_write_b32 v77, v59
	ds_read2_b32 v[59:60], v75 offset0:188 offset1:244
	global_load_dword v64, v[53:54], off offset:1344
	global_load_dword v74, v[53:54], off offset:2016
	;; [unrolled: 1-line block ×4, first 2 shown]
	s_waitcnt lgkmcnt(0)
	v_lshrrev_b32_e32 v62, 16, v59
	s_waitcnt vmcnt(20)
	v_mul_f16_sdwa v171, v62, v65 dst_sel:DWORD dst_unused:UNUSED_PAD src0_sel:DWORD src1_sel:WORD_1
	v_fma_f16 v171, v59, v65, -v171
	v_mul_f16_sdwa v59, v59, v65 dst_sel:DWORD dst_unused:UNUSED_PAD src0_sel:DWORD src1_sel:WORD_1
	v_fma_f16 v59, v62, v65, v59
	v_pack_b32_f16 v65, v171, v59
	global_load_dword v171, v[53:54], off offset:1568
	global_load_dword v172, v[53:54], off offset:1792
	v_lshrrev_b32_e32 v59, 16, v63
	s_waitcnt vmcnt(21)
	v_mul_f16_sdwa v62, v59, v66 dst_sel:DWORD dst_unused:UNUSED_PAD src0_sel:DWORD src1_sel:WORD_1
	v_fma_f16 v62, v63, v66, -v62
	v_mul_f16_sdwa v63, v63, v66 dst_sel:DWORD dst_unused:UNUSED_PAD src0_sel:DWORD src1_sel:WORD_1
	v_fma_f16 v59, v59, v66, v63
	v_pack_b32_f16 v66, v62, v59
	ds_read2_b32 v[62:63], v77 offset0:112 offset1:168
	v_lshrrev_b32_e32 v59, 16, v60
	s_waitcnt vmcnt(20)
	v_mul_f16_sdwa v173, v59, v67 dst_sel:DWORD dst_unused:UNUSED_PAD src0_sel:DWORD src1_sel:WORD_1
	v_fma_f16 v173, v60, v67, -v173
	v_mul_f16_sdwa v60, v60, v67 dst_sel:DWORD dst_unused:UNUSED_PAD src0_sel:DWORD src1_sel:WORD_1
	v_fma_f16 v59, v59, v67, v60
	v_pack_b32_f16 v67, v173, v59
	s_waitcnt lgkmcnt(0)
	v_lshrrev_b32_e32 v173, 16, v62
	s_waitcnt vmcnt(19)
	v_mul_f16_sdwa v59, v173, v68 dst_sel:DWORD dst_unused:UNUSED_PAD src0_sel:DWORD src1_sel:WORD_1
	v_fma_f16 v174, v62, v68, -v59
	ds_read2_b32 v[59:60], v69 offset0:44 offset1:100
	v_mul_f16_sdwa v62, v62, v68 dst_sel:DWORD dst_unused:UNUSED_PAD src0_sel:DWORD src1_sel:WORD_1
	v_fma_f16 v62, v173, v68, v62
	v_pack_b32_f16 v62, v174, v62
	ds_write2_b32 v77, v66, v62 offset0:56 offset1:112
	s_waitcnt lgkmcnt(1)
	v_lshrrev_b32_e32 v62, 16, v59
	s_waitcnt vmcnt(18)
	v_mul_f16_sdwa v66, v62, v70 dst_sel:DWORD dst_unused:UNUSED_PAD src0_sel:DWORD src1_sel:WORD_1
	v_fma_f16 v66, v59, v70, -v66
	v_mul_f16_sdwa v59, v59, v70 dst_sel:DWORD dst_unused:UNUSED_PAD src0_sel:DWORD src1_sel:WORD_1
	v_fma_f16 v59, v62, v70, v59
	v_pack_b32_f16 v59, v66, v59
	v_add_u32_e32 v62, 0xa00, v77
	ds_write2_b32 v62, v67, v59 offset0:116 offset1:172
	v_lshrrev_b32_e32 v59, 16, v63
	s_waitcnt vmcnt(17)
	v_mul_f16_sdwa v62, v59, v71 dst_sel:DWORD dst_unused:UNUSED_PAD src0_sel:DWORD src1_sel:WORD_1
	v_fma_f16 v62, v63, v71, -v62
	v_mul_f16_sdwa v63, v63, v71 dst_sel:DWORD dst_unused:UNUSED_PAD src0_sel:DWORD src1_sel:WORD_1
	v_fma_f16 v59, v59, v71, v63
	v_pack_b32_f16 v66, v62, v59
	ds_read2_b32 v[62:63], v55 offset0:96 offset1:152
	v_lshrrev_b32_e32 v59, 16, v60
	s_waitcnt vmcnt(16)
	v_mul_f16_sdwa v67, v59, v72 dst_sel:DWORD dst_unused:UNUSED_PAD src0_sel:DWORD src1_sel:WORD_1
	v_fma_f16 v67, v60, v72, -v67
	v_mul_f16_sdwa v60, v60, v72 dst_sel:DWORD dst_unused:UNUSED_PAD src0_sel:DWORD src1_sel:WORD_1
	v_fma_f16 v59, v59, v72, v60
	s_waitcnt lgkmcnt(0)
	v_lshrrev_b32_e32 v68, 16, v62
	v_pack_b32_f16 v67, v67, v59
	s_waitcnt vmcnt(15)
	v_mul_f16_sdwa v59, v68, v159 dst_sel:DWORD dst_unused:UNUSED_PAD src0_sel:DWORD src1_sel:WORD_1
	v_fma_f16 v70, v62, v159, -v59
	ds_read2_b32 v[59:60], v69 offset0:156 offset1:212
	v_mul_f16_sdwa v62, v62, v159 dst_sel:DWORD dst_unused:UNUSED_PAD src0_sel:DWORD src1_sel:WORD_1
	v_fma_f16 v62, v68, v159, v62
	v_pack_b32_f16 v62, v70, v62
	ds_write2_b32 v77, v66, v62 offset0:168 offset1:224
	s_waitcnt lgkmcnt(1)
	v_lshrrev_b32_e32 v62, 16, v59
	s_waitcnt vmcnt(14)
	v_mul_f16_sdwa v66, v62, v160 dst_sel:DWORD dst_unused:UNUSED_PAD src0_sel:DWORD src1_sel:WORD_1
	v_fma_f16 v66, v59, v160, -v66
	v_mul_f16_sdwa v59, v59, v160 dst_sel:DWORD dst_unused:UNUSED_PAD src0_sel:DWORD src1_sel:WORD_1
	v_fma_f16 v59, v62, v160, v59
	v_pack_b32_f16 v59, v66, v59
	ds_write2_b32 v69, v67, v59 offset0:100 offset1:156
	v_lshrrev_b32_e32 v59, 16, v63
	s_waitcnt vmcnt(6)
	v_mul_f16_sdwa v62, v59, v168 dst_sel:DWORD dst_unused:UNUSED_PAD src0_sel:DWORD src1_sel:WORD_1
	v_fma_f16 v62, v63, v168, -v62
	v_mul_f16_sdwa v63, v63, v168 dst_sel:DWORD dst_unused:UNUSED_PAD src0_sel:DWORD src1_sel:WORD_1
	v_fma_f16 v59, v59, v168, v63
	v_pack_b32_f16 v66, v62, v59
	ds_read2_b32 v[62:63], v56 offset0:80 offset1:136
	v_lshrrev_b32_e32 v59, 16, v60
	v_mul_f16_sdwa v67, v59, v167 dst_sel:DWORD dst_unused:UNUSED_PAD src0_sel:DWORD src1_sel:WORD_1
	v_fma_f16 v67, v60, v167, -v67
	v_mul_f16_sdwa v60, v60, v167 dst_sel:DWORD dst_unused:UNUSED_PAD src0_sel:DWORD src1_sel:WORD_1
	v_fma_f16 v59, v59, v167, v60
	s_waitcnt lgkmcnt(0)
	v_lshrrev_b32_e32 v68, 16, v62
	v_pack_b32_f16 v67, v67, v59
	s_waitcnt vmcnt(5)
	v_mul_f16_sdwa v59, v68, v64 dst_sel:DWORD dst_unused:UNUSED_PAD src0_sel:DWORD src1_sel:WORD_1
	v_fma_f16 v70, v62, v64, -v59
	ds_read2_b32 v[59:60], v73 offset0:12 offset1:68
	v_mul_f16_sdwa v62, v62, v64 dst_sel:DWORD dst_unused:UNUSED_PAD src0_sel:DWORD src1_sel:WORD_1
	v_fma_f16 v62, v68, v64, v62
	v_pack_b32_f16 v62, v70, v62
	ds_write2_b32 v56, v66, v62 offset0:24 offset1:80
	s_waitcnt lgkmcnt(1)
	v_lshrrev_b32_e32 v62, 16, v59
	v_mul_f16_sdwa v64, v62, v161 dst_sel:DWORD dst_unused:UNUSED_PAD src0_sel:DWORD src1_sel:WORD_1
	v_fma_f16 v64, v59, v161, -v64
	v_mul_f16_sdwa v59, v59, v161 dst_sel:DWORD dst_unused:UNUSED_PAD src0_sel:DWORD src1_sel:WORD_1
	v_fma_f16 v59, v62, v161, v59
	v_pack_b32_f16 v59, v64, v59
	ds_write2_b32 v61, v67, v59 offset0:84 offset1:140
	v_lshrrev_b32_e32 v59, 16, v63
	s_waitcnt vmcnt(1)
	v_mul_f16_sdwa v61, v59, v171 dst_sel:DWORD dst_unused:UNUSED_PAD src0_sel:DWORD src1_sel:WORD_1
	v_mul_f16_sdwa v62, v63, v171 dst_sel:DWORD dst_unused:UNUSED_PAD src0_sel:DWORD src1_sel:WORD_1
	v_fma_f16 v61, v63, v171, -v61
	v_fma_f16 v59, v59, v171, v62
	v_pack_b32_f16 v63, v61, v59
	ds_read2_b32 v[61:62], v56 offset0:192 offset1:248
	v_lshrrev_b32_e32 v59, 16, v60
	v_mul_f16_sdwa v64, v59, v162 dst_sel:DWORD dst_unused:UNUSED_PAD src0_sel:DWORD src1_sel:WORD_1
	v_fma_f16 v64, v60, v162, -v64
	v_mul_f16_sdwa v60, v60, v162 dst_sel:DWORD dst_unused:UNUSED_PAD src0_sel:DWORD src1_sel:WORD_1
	v_fma_f16 v59, v59, v162, v60
	s_waitcnt lgkmcnt(0)
	v_lshrrev_b32_e32 v66, 16, v61
	v_pack_b32_f16 v64, v64, v59
	s_waitcnt vmcnt(0)
	v_mul_f16_sdwa v59, v66, v172 dst_sel:DWORD dst_unused:UNUSED_PAD src0_sel:DWORD src1_sel:WORD_1
	v_fma_f16 v67, v61, v172, -v59
	ds_read2_b32 v[59:60], v73 offset0:124 offset1:180
	v_mul_f16_sdwa v61, v61, v172 dst_sel:DWORD dst_unused:UNUSED_PAD src0_sel:DWORD src1_sel:WORD_1
	v_fma_f16 v61, v66, v172, v61
	v_pack_b32_f16 v61, v67, v61
	ds_write2_b32 v56, v63, v61 offset0:136 offset1:192
	s_waitcnt lgkmcnt(1)
	v_lshrrev_b32_e32 v61, 16, v59
	v_mul_f16_sdwa v63, v61, v163 dst_sel:DWORD dst_unused:UNUSED_PAD src0_sel:DWORD src1_sel:WORD_1
	v_fma_f16 v63, v59, v163, -v63
	v_mul_f16_sdwa v59, v59, v163 dst_sel:DWORD dst_unused:UNUSED_PAD src0_sel:DWORD src1_sel:WORD_1
	v_fma_f16 v59, v61, v163, v59
	v_pack_b32_f16 v59, v63, v59
	ds_write2_b32 v73, v64, v59 offset0:68 offset1:124
	v_lshrrev_b32_e32 v59, 16, v62
	v_mul_f16_sdwa v61, v59, v74 dst_sel:DWORD dst_unused:UNUSED_PAD src0_sel:DWORD src1_sel:WORD_1
	v_fma_f16 v61, v62, v74, -v61
	v_mul_f16_sdwa v62, v62, v74 dst_sel:DWORD dst_unused:UNUSED_PAD src0_sel:DWORD src1_sel:WORD_1
	v_fma_f16 v59, v59, v74, v62
	v_pack_b32_f16 v63, v61, v59
	ds_read2_b32 v[61:62], v75 offset0:48 offset1:104
	v_lshrrev_b32_e32 v59, 16, v60
	v_mul_f16_sdwa v64, v59, v164 dst_sel:DWORD dst_unused:UNUSED_PAD src0_sel:DWORD src1_sel:WORD_1
	v_fma_f16 v64, v60, v164, -v64
	v_mul_f16_sdwa v60, v60, v164 dst_sel:DWORD dst_unused:UNUSED_PAD src0_sel:DWORD src1_sel:WORD_1
	v_fma_f16 v59, v59, v164, v60
	s_waitcnt lgkmcnt(0)
	v_lshrrev_b32_e32 v66, 16, v61
	v_pack_b32_f16 v64, v64, v59
	v_mul_f16_sdwa v59, v66, v169 dst_sel:DWORD dst_unused:UNUSED_PAD src0_sel:DWORD src1_sel:WORD_1
	v_fma_f16 v67, v61, v169, -v59
	ds_read2_b32 v[59:60], v76 offset0:108 offset1:164
	v_mul_f16_sdwa v61, v61, v169 dst_sel:DWORD dst_unused:UNUSED_PAD src0_sel:DWORD src1_sel:WORD_1
	v_fma_f16 v61, v66, v169, v61
	v_pack_b32_f16 v61, v67, v61
	v_add_u32_e32 v66, 0x600, v77
	ds_write2_b32 v66, v63, v61 offset0:120 offset1:176
	s_waitcnt lgkmcnt(1)
	v_lshrrev_b32_e32 v61, 16, v59
	v_mul_f16_sdwa v63, v61, v165 dst_sel:DWORD dst_unused:UNUSED_PAD src0_sel:DWORD src1_sel:WORD_1
	v_fma_f16 v63, v59, v165, -v63
	v_mul_f16_sdwa v59, v59, v165 dst_sel:DWORD dst_unused:UNUSED_PAD src0_sel:DWORD src1_sel:WORD_1
	v_fma_f16 v59, v61, v165, v59
	v_pack_b32_f16 v59, v63, v59
	ds_write2_b32 v73, v64, v59 offset0:180 offset1:236
	v_lshrrev_b32_e32 v59, 16, v62
	v_mul_f16_sdwa v61, v59, v170 dst_sel:DWORD dst_unused:UNUSED_PAD src0_sel:DWORD src1_sel:WORD_1
	v_fma_f16 v61, v62, v170, -v61
	v_mul_f16_sdwa v62, v62, v170 dst_sel:DWORD dst_unused:UNUSED_PAD src0_sel:DWORD src1_sel:WORD_1
	v_fma_f16 v59, v59, v170, v62
	v_pack_b32_f16 v59, v61, v59
	ds_write2_b32 v75, v59, v65 offset0:104 offset1:188
	v_lshrrev_b32_e32 v59, 16, v60
	v_mul_f16_sdwa v61, v59, v166 dst_sel:DWORD dst_unused:UNUSED_PAD src0_sel:DWORD src1_sel:WORD_1
	v_fma_f16 v61, v60, v166, -v61
	v_mul_f16_sdwa v60, v60, v166 dst_sel:DWORD dst_unused:UNUSED_PAD src0_sel:DWORD src1_sel:WORD_1
	v_fma_f16 v59, v59, v166, v60
	v_pack_b32_f16 v59, v61, v59
	ds_write_b32 v77, v59 offset:5264
	s_and_saveexec_b64 s[4:5], s[0:1]
	s_cbranch_execz .LBB0_21
; %bb.20:
	global_load_dword v59, v[53:54], off offset:2688
	v_add_co_u32_e32 v53, vcc, 0x1000, v53
	v_addc_co_u32_e32 v54, vcc, 0, v54, vcc
	global_load_dword v53, v[53:54], off offset:1392
	ds_read_b32 v54, v77 offset:2688
	ds_read_b32 v60, v77 offset:5488
	s_waitcnt lgkmcnt(1)
	v_lshrrev_b32_e32 v61, 16, v54
	s_waitcnt lgkmcnt(0)
	v_lshrrev_b32_e32 v62, 16, v60
	s_waitcnt vmcnt(1)
	v_mul_f16_sdwa v63, v61, v59 dst_sel:DWORD dst_unused:UNUSED_PAD src0_sel:DWORD src1_sel:WORD_1
	v_mul_f16_sdwa v64, v54, v59 dst_sel:DWORD dst_unused:UNUSED_PAD src0_sel:DWORD src1_sel:WORD_1
	v_fma_f16 v54, v54, v59, -v63
	v_fma_f16 v59, v61, v59, v64
	v_pack_b32_f16 v54, v54, v59
	s_waitcnt vmcnt(0)
	v_mul_f16_sdwa v59, v62, v53 dst_sel:DWORD dst_unused:UNUSED_PAD src0_sel:DWORD src1_sel:WORD_1
	v_mul_f16_sdwa v61, v60, v53 dst_sel:DWORD dst_unused:UNUSED_PAD src0_sel:DWORD src1_sel:WORD_1
	ds_write_b32 v77, v54 offset:2688
	v_fma_f16 v54, v60, v53, -v59
	v_fma_f16 v53, v62, v53, v61
	v_pack_b32_f16 v53, v54, v53
	ds_write_b32 v77, v53 offset:5488
.LBB0_21:
	s_or_b64 exec, exec, s[4:5]
	v_lshlrev_b32_e32 v160, 2, v57
	v_lshlrev_b32_e32 v159, 2, v58
	s_waitcnt lgkmcnt(0)
	; wave barrier
	s_waitcnt lgkmcnt(0)
	ds_read2_b32 v[63:64], v77 offset1:56
	ds_read2_b32 v[65:66], v75 offset0:188 offset1:244
	ds_read2_b32 v[61:62], v77 offset0:112 offset1:168
	;; [unrolled: 1-line block ×11, first 2 shown]
	v_lshlrev_b32_e32 v163, 2, v116
	v_lshlrev_b32_e32 v162, 2, v119
	;; [unrolled: 1-line block ×4, first 2 shown]
	s_and_saveexec_b64 s[4:5], s[0:1]
	s_cbranch_execz .LBB0_23
; %bb.22:
	ds_read_b32 v157, v77 offset:2688
	ds_read_b32 v51, v77 offset:5488
	s_waitcnt lgkmcnt(1)
	v_lshrrev_b32_e32 v158, 16, v157
	s_waitcnt lgkmcnt(0)
	v_lshrrev_b32_e32 v156, 16, v51
.LBB0_23:
	s_or_b64 exec, exec, s[4:5]
	s_waitcnt lgkmcnt(10)
	v_pk_add_f16 v165, v63, v65 neg_lo:[0,1] neg_hi:[0,1]
	v_pk_add_f16 v65, v64, v66 neg_lo:[0,1] neg_hi:[0,1]
	s_waitcnt lgkmcnt(8)
	v_pk_add_f16 v66, v61, v67 neg_lo:[0,1] neg_hi:[0,1]
	v_pk_fma_f16 v164, v63, 2.0, v165 op_sel_hi:[1,0,1] neg_lo:[0,0,1] neg_hi:[0,0,1]
	v_pk_fma_f16 v64, v64, 2.0, v65 op_sel_hi:[1,0,1] neg_lo:[0,0,1] neg_hi:[0,0,1]
	v_pk_add_f16 v67, v62, v68 neg_lo:[0,1] neg_hi:[0,1]
	s_waitcnt lgkmcnt(0)
	; wave barrier
	s_waitcnt lgkmcnt(0)
	ds_write_b64 v108, v[164:165]
	ds_write_b64 v109, v[64:65]
	v_pk_fma_f16 v65, v61, 2.0, v66 op_sel_hi:[1,0,1] neg_lo:[0,0,1] neg_hi:[0,0,1]
	v_pk_add_f16 v68, v59, v69 neg_lo:[0,1] neg_hi:[0,1]
	ds_write_b64 v110, v[65:66]
	v_pk_fma_f16 v66, v62, 2.0, v67 op_sel_hi:[1,0,1] neg_lo:[0,0,1] neg_hi:[0,0,1]
	v_pk_add_f16 v69, v60, v70 neg_lo:[0,1] neg_hi:[0,1]
	;; [unrolled: 3-line block ×8, first 2 shown]
	v_sub_f16_e32 v119, v157, v51
	v_sub_f16_e32 v122, v158, v156
	ds_write_b64 v162, v[72:73]
	v_pk_fma_f16 v73, v53, 2.0, v74 op_sel_hi:[1,0,1] neg_lo:[0,0,1] neg_hi:[0,0,1]
	v_fma_f16 v51, v157, 2.0, -v119
	v_fma_f16 v116, v158, 2.0, -v122
	ds_write_b64 v161, v[73:74]
	v_pk_fma_f16 v74, v54, 2.0, v75 op_sel_hi:[1,0,1] neg_lo:[0,0,1] neg_hi:[0,0,1]
	ds_write_b64 v125, v[74:75]
	s_and_saveexec_b64 s[4:5], s[0:1]
	s_cbranch_execz .LBB0_25
; %bb.24:
	s_mov_b32 s12, 0x5040100
	v_perm_b32 v54, v122, v119, s12
	v_perm_b32 v53, v116, v51, s12
	ds_write_b64 v114, v[53:54]
.LBB0_25:
	s_or_b64 exec, exec, s[4:5]
	v_add_u32_e32 v53, 0x800, v77
	v_add_u32_e32 v54, 0xc00, v77
	;; [unrolled: 1-line block ×3, first 2 shown]
	s_waitcnt lgkmcnt(0)
	; wave barrier
	s_waitcnt lgkmcnt(0)
	ds_read2_b32 v[63:64], v77 offset1:56
	ds_read2_b32 v[75:76], v53 offset0:188 offset1:244
	ds_read2_b32 v[61:62], v77 offset0:112 offset1:168
	;; [unrolled: 1-line block ×5, first 2 shown]
	v_add_u32_e32 v54, 0x400, v77
	v_add_u32_e32 v65, 0x1000, v77
	ds_read2_b32 v[57:58], v54 offset0:80 offset1:136
	ds_read2_b32 v[69:70], v65 offset0:12 offset1:68
	;; [unrolled: 1-line block ×5, first 2 shown]
	v_add_u32_e32 v65, 0x1200, v77
	ds_read2_b32 v[65:66], v65 offset0:108 offset1:164
	s_and_saveexec_b64 s[4:5], s[0:1]
	s_cbranch_execz .LBB0_27
; %bb.26:
	ds_read_b32 v51, v77 offset:2688
	ds_read_b32 v119, v77 offset:5488
	s_waitcnt lgkmcnt(1)
	v_lshrrev_b32_e32 v116, 16, v51
	s_waitcnt lgkmcnt(0)
	v_lshrrev_b32_e32 v122, 16, v119
.LBB0_27:
	s_or_b64 exec, exec, s[4:5]
	s_waitcnt lgkmcnt(10)
	v_lshrrev_b32_e32 v109, 16, v75
	v_mul_f16_sdwa v172, v106, v109 dst_sel:DWORD dst_unused:UNUSED_PAD src0_sel:WORD_1 src1_sel:DWORD
	v_lshrrev_b32_e32 v111, 16, v76
	v_fma_f16 v172, v106, v75, v172
	v_mul_f16_sdwa v75, v106, v75 dst_sel:DWORD dst_unused:UNUSED_PAD src0_sel:WORD_1 src1_sel:DWORD
	v_fma_f16 v75, v106, v109, -v75
	v_mul_f16_sdwa v109, v106, v111 dst_sel:DWORD dst_unused:UNUSED_PAD src0_sel:WORD_1 src1_sel:DWORD
	s_waitcnt lgkmcnt(8)
	v_lshrrev_b32_e32 v114, 16, v73
	v_fma_f16 v109, v106, v76, v109
	v_mul_f16_sdwa v76, v106, v76 dst_sel:DWORD dst_unused:UNUSED_PAD src0_sel:WORD_1 src1_sel:DWORD
	v_fma_f16 v76, v106, v111, -v76
	v_mul_f16_sdwa v111, v106, v114 dst_sel:DWORD dst_unused:UNUSED_PAD src0_sel:WORD_1 src1_sel:DWORD
	v_lshrrev_b32_e32 v125, 16, v74
	v_fma_f16 v111, v106, v73, v111
	v_mul_f16_sdwa v73, v106, v73 dst_sel:DWORD dst_unused:UNUSED_PAD src0_sel:WORD_1 src1_sel:DWORD
	v_fma_f16 v73, v106, v114, -v73
	v_mul_f16_sdwa v114, v106, v125 dst_sel:DWORD dst_unused:UNUSED_PAD src0_sel:WORD_1 src1_sel:DWORD
	s_waitcnt lgkmcnt(6)
	v_lshrrev_b32_e32 v157, 16, v71
	v_fma_f16 v114, v106, v74, v114
	v_mul_f16_sdwa v74, v106, v74 dst_sel:DWORD dst_unused:UNUSED_PAD src0_sel:WORD_1 src1_sel:DWORD
	v_fma_f16 v74, v106, v125, -v74
	;; [unrolled: 11-line block ×5, first 2 shown]
	v_mul_f16_sdwa v167, v106, v169 dst_sel:DWORD dst_unused:UNUSED_PAD src0_sel:WORD_1 src1_sel:DWORD
	v_lshrrev_b32_e32 v171, 16, v66
	v_fma_f16 v167, v106, v65, v167
	v_mul_f16_sdwa v65, v106, v65 dst_sel:DWORD dst_unused:UNUSED_PAD src0_sel:WORD_1 src1_sel:DWORD
	v_fma_f16 v65, v106, v169, -v65
	v_mul_f16_sdwa v169, v106, v171 dst_sel:DWORD dst_unused:UNUSED_PAD src0_sel:WORD_1 src1_sel:DWORD
	v_fma_f16 v169, v106, v66, v169
	v_mul_f16_sdwa v66, v106, v66 dst_sel:DWORD dst_unused:UNUSED_PAD src0_sel:WORD_1 src1_sel:DWORD
	v_fma_f16 v66, v106, v171, -v66
	v_mul_f16_sdwa v171, v106, v122 dst_sel:DWORD dst_unused:UNUSED_PAD src0_sel:WORD_1 src1_sel:DWORD
	v_lshrrev_b32_e32 v108, 16, v63
	v_fma_f16 v171, v106, v119, v171
	v_mul_f16_sdwa v119, v106, v119 dst_sel:DWORD dst_unused:UNUSED_PAD src0_sel:WORD_1 src1_sel:DWORD
	v_lshrrev_b32_e32 v110, 16, v64
	v_fma_f16 v106, v106, v122, -v119
	v_sub_f16_e32 v119, v63, v172
	v_sub_f16_e32 v75, v108, v75
	v_lshrrev_b32_e32 v113, 16, v61
	v_fma_f16 v63, v63, 2.0, -v119
	v_fma_f16 v122, v108, 2.0, -v75
	v_sub_f16_e32 v172, v64, v109
	v_sub_f16_e32 v76, v110, v76
	;; [unrolled: 1-line block ×3, first 2 shown]
	v_lshrrev_b32_e32 v115, 16, v62
	v_fma_f16 v64, v64, 2.0, -v172
	v_fma_f16 v173, v110, 2.0, -v76
	v_sub_f16_e32 v111, v61, v111
	v_sub_f16_e32 v73, v113, v73
	;; [unrolled: 1-line block ×3, first 2 shown]
	v_fma_f16 v106, v51, 2.0, -v109
	v_pack_b32_f16 v51, v63, v122
	v_pack_b32_f16 v63, v119, v75
	v_lshrrev_b32_e32 v156, 16, v59
	v_fma_f16 v61, v61, 2.0, -v111
	v_fma_f16 v113, v113, 2.0, -v73
	v_sub_f16_e32 v114, v62, v114
	v_sub_f16_e32 v74, v115, v74
	s_waitcnt lgkmcnt(0)
	; wave barrier
	ds_write2_b32 v117, v51, v63 offset1:2
	v_pack_b32_f16 v51, v64, v173
	v_pack_b32_f16 v63, v172, v76
	v_lshrrev_b32_e32 v158, 16, v60
	v_fma_f16 v62, v62, 2.0, -v114
	v_fma_f16 v115, v115, 2.0, -v74
	v_sub_f16_e32 v125, v59, v125
	v_sub_f16_e32 v71, v156, v71
	ds_write2_b32 v118, v51, v63 offset1:2
	v_pack_b32_f16 v51, v61, v113
	v_pack_b32_f16 v61, v111, v73
	v_lshrrev_b32_e32 v160, 16, v57
	v_fma_f16 v59, v59, 2.0, -v125
	v_fma_f16 v156, v156, 2.0, -v71
	v_sub_f16_e32 v157, v60, v157
	v_sub_f16_e32 v72, v158, v72
	;; [unrolled: 8-line block ×7, first 2 shown]
	ds_write2_b32 v128, v51, v57 offset1:2
	v_pack_b32_f16 v51, v55, v164
	v_pack_b32_f16 v55, v163, v67
	v_fma_f16 v53, v53, 2.0, -v167
	v_fma_f16 v168, v168, 2.0, -v65
	v_sub_f16_e32 v169, v54, v169
	v_sub_f16_e32 v66, v170, v66
	ds_write2_b32 v129, v51, v55 offset1:2
	v_pack_b32_f16 v51, v56, v166
	v_pack_b32_f16 v55, v165, v68
	v_fma_f16 v54, v54, 2.0, -v169
	v_fma_f16 v170, v170, 2.0, -v66
	ds_write2_b32 v130, v51, v55 offset1:2
	v_pack_b32_f16 v51, v53, v168
	v_pack_b32_f16 v53, v167, v65
	v_fma_f16 v108, v116, 2.0, -v110
	ds_write2_b32 v131, v51, v53 offset1:2
	v_pack_b32_f16 v51, v54, v170
	v_pack_b32_f16 v53, v169, v66
	ds_write2_b32 v132, v51, v53 offset1:2
	s_and_saveexec_b64 s[4:5], s[0:1]
	s_cbranch_execz .LBB0_29
; %bb.28:
	s_movk_i32 s12, 0x57c
	v_and_or_b32 v51, v105, s12, v104
	s_mov_b32 s12, 0x5040100
	v_lshlrev_b32_e32 v51, 2, v51
	v_perm_b32 v53, v108, v106, s12
	v_perm_b32 v54, v110, v109, s12
	ds_write2_b32 v51, v53, v54 offset1:2
.LBB0_29:
	s_or_b64 exec, exec, s[4:5]
	v_add_u32_e32 v51, 0x800, v77
	v_add_u32_e32 v53, 0xc00, v77
	;; [unrolled: 1-line block ×3, first 2 shown]
	s_waitcnt lgkmcnt(0)
	; wave barrier
	s_waitcnt lgkmcnt(0)
	ds_read2_b32 v[63:64], v77 offset1:56
	ds_read2_b32 v[75:76], v51 offset0:188 offset1:244
	ds_read2_b32 v[61:62], v77 offset0:112 offset1:168
	;; [unrolled: 1-line block ×5, first 2 shown]
	v_add_u32_e32 v53, 0x400, v77
	v_add_u32_e32 v54, 0x1000, v77
	ds_read2_b32 v[57:58], v53 offset0:80 offset1:136
	ds_read2_b32 v[69:70], v54 offset0:12 offset1:68
	;; [unrolled: 1-line block ×5, first 2 shown]
	v_add_u32_e32 v51, 0x1200, v77
	ds_read2_b32 v[65:66], v51 offset0:108 offset1:164
	s_and_saveexec_b64 s[4:5], s[0:1]
	s_cbranch_execz .LBB0_31
; %bb.30:
	ds_read_b32 v106, v77 offset:2688
	ds_read_b32 v109, v77 offset:5488
	s_waitcnt lgkmcnt(1)
	v_lshrrev_b32_e32 v108, 16, v106
	s_waitcnt lgkmcnt(0)
	v_lshrrev_b32_e32 v110, 16, v109
.LBB0_31:
	s_or_b64 exec, exec, s[4:5]
	s_waitcnt lgkmcnt(10)
	v_lshrrev_b32_e32 v104, 16, v75
	v_mul_f16_sdwa v158, v123, v104 dst_sel:DWORD dst_unused:UNUSED_PAD src0_sel:WORD_1 src1_sel:DWORD
	v_lshrrev_b32_e32 v113, 16, v76
	v_fma_f16 v158, v123, v75, v158
	v_mul_f16_sdwa v75, v123, v75 dst_sel:DWORD dst_unused:UNUSED_PAD src0_sel:WORD_1 src1_sel:DWORD
	v_fma_f16 v75, v123, v104, -v75
	v_mul_f16_sdwa v104, v123, v113 dst_sel:DWORD dst_unused:UNUSED_PAD src0_sel:WORD_1 src1_sel:DWORD
	s_waitcnt lgkmcnt(8)
	v_lshrrev_b32_e32 v115, 16, v73
	v_fma_f16 v104, v123, v76, v104
	v_mul_f16_sdwa v76, v123, v76 dst_sel:DWORD dst_unused:UNUSED_PAD src0_sel:WORD_1 src1_sel:DWORD
	v_fma_f16 v76, v123, v113, -v76
	v_mul_f16_sdwa v113, v123, v115 dst_sel:DWORD dst_unused:UNUSED_PAD src0_sel:WORD_1 src1_sel:DWORD
	v_lshrrev_b32_e32 v117, 16, v74
	v_fma_f16 v113, v123, v73, v113
	v_mul_f16_sdwa v73, v123, v73 dst_sel:DWORD dst_unused:UNUSED_PAD src0_sel:WORD_1 src1_sel:DWORD
	v_fma_f16 v73, v123, v115, -v73
	v_mul_f16_sdwa v115, v123, v117 dst_sel:DWORD dst_unused:UNUSED_PAD src0_sel:WORD_1 src1_sel:DWORD
	s_waitcnt lgkmcnt(6)
	v_lshrrev_b32_e32 v119, 16, v71
	v_fma_f16 v115, v123, v74, v115
	v_mul_f16_sdwa v74, v123, v74 dst_sel:DWORD dst_unused:UNUSED_PAD src0_sel:WORD_1 src1_sel:DWORD
	v_fma_f16 v74, v123, v117, -v74
	;; [unrolled: 11-line block ×5, first 2 shown]
	v_mul_f16_sdwa v130, v123, v132 dst_sel:DWORD dst_unused:UNUSED_PAD src0_sel:WORD_1 src1_sel:DWORD
	v_lshrrev_b32_e32 v157, 16, v66
	v_fma_f16 v130, v123, v65, v130
	v_mul_f16_sdwa v65, v123, v65 dst_sel:DWORD dst_unused:UNUSED_PAD src0_sel:WORD_1 src1_sel:DWORD
	v_fma_f16 v65, v123, v132, -v65
	v_mul_f16_sdwa v132, v123, v157 dst_sel:DWORD dst_unused:UNUSED_PAD src0_sel:WORD_1 src1_sel:DWORD
	v_fma_f16 v132, v123, v66, v132
	v_mul_f16_sdwa v66, v123, v66 dst_sel:DWORD dst_unused:UNUSED_PAD src0_sel:WORD_1 src1_sel:DWORD
	v_fma_f16 v66, v123, v157, -v66
	v_mul_f16_sdwa v157, v123, v110 dst_sel:DWORD dst_unused:UNUSED_PAD src0_sel:WORD_1 src1_sel:DWORD
	v_lshrrev_b32_e32 v51, 16, v63
	v_fma_f16 v157, v123, v109, v157
	v_mul_f16_sdwa v109, v123, v109 dst_sel:DWORD dst_unused:UNUSED_PAD src0_sel:WORD_1 src1_sel:DWORD
	v_lshrrev_b32_e32 v111, 16, v64
	v_fma_f16 v109, v123, v110, -v109
	v_sub_f16_e32 v110, v63, v158
	v_sub_f16_e32 v75, v51, v75
	v_lshrrev_b32_e32 v114, 16, v61
	v_fma_f16 v63, v63, 2.0, -v110
	v_fma_f16 v123, v51, 2.0, -v75
	v_sub_f16_e32 v104, v64, v104
	v_sub_f16_e32 v76, v111, v76
	v_lshrrev_b32_e32 v116, 16, v62
	v_fma_f16 v64, v64, 2.0, -v104
	v_fma_f16 v111, v111, 2.0, -v76
	v_sub_f16_e32 v113, v61, v113
	v_sub_f16_e32 v158, v114, v73
	v_pack_b32_f16 v63, v63, v123
	v_pack_b32_f16 v75, v110, v75
	v_lshrrev_b32_e32 v118, 16, v59
	v_fma_f16 v61, v61, 2.0, -v113
	v_fma_f16 v114, v114, 2.0, -v158
	v_sub_f16_e32 v115, v62, v115
	v_sub_f16_e32 v74, v116, v74
	s_waitcnt lgkmcnt(0)
	; wave barrier
	ds_write2_b32 v133, v63, v75 offset1:4
	v_pack_b32_f16 v63, v64, v111
	v_pack_b32_f16 v64, v104, v76
	v_lshrrev_b32_e32 v120, 16, v60
	v_fma_f16 v62, v62, 2.0, -v115
	v_fma_f16 v116, v116, 2.0, -v74
	v_sub_f16_e32 v117, v59, v117
	v_sub_f16_e32 v71, v118, v71
	ds_write2_b32 v134, v63, v64 offset1:4
	v_pack_b32_f16 v61, v61, v114
	v_pack_b32_f16 v63, v113, v158
	v_lshrrev_b32_e32 v122, 16, v57
	v_fma_f16 v59, v59, 2.0, -v117
	v_fma_f16 v118, v118, 2.0, -v71
	v_sub_f16_e32 v119, v60, v119
	v_sub_f16_e32 v72, v120, v72
	;; [unrolled: 8-line block ×7, first 2 shown]
	ds_write2_b32 v140, v57, v58 offset1:4
	v_pack_b32_f16 v55, v55, v127
	v_pack_b32_f16 v57, v126, v67
	v_fma_f16 v53, v53, 2.0, -v130
	v_fma_f16 v131, v131, 2.0, -v65
	v_sub_f16_e32 v132, v54, v132
	v_sub_f16_e32 v66, v156, v66
	ds_write2_b32 v141, v55, v57 offset1:4
	v_pack_b32_f16 v55, v56, v129
	v_pack_b32_f16 v56, v128, v68
	v_fma_f16 v54, v54, 2.0, -v132
	v_fma_f16 v156, v156, 2.0, -v66
	ds_write2_b32 v142, v55, v56 offset1:4
	v_pack_b32_f16 v53, v53, v131
	v_pack_b32_f16 v55, v130, v65
	v_sub_f16_e32 v51, v106, v157
	v_sub_f16_e32 v73, v108, v109
	ds_write2_b32 v143, v53, v55 offset1:4
	v_pack_b32_f16 v53, v54, v156
	v_pack_b32_f16 v54, v132, v66
	ds_write2_b32 v144, v53, v54 offset1:4
	s_and_saveexec_b64 s[4:5], s[0:1]
	s_cbranch_execz .LBB0_33
; %bb.32:
	s_movk_i32 s12, 0x578
	v_fma_f16 v53, v106, 2.0, -v51
	v_fma_f16 v54, v108, 2.0, -v73
	v_and_or_b32 v55, v105, s12, v112
	s_mov_b32 s12, 0x5040100
	v_lshlrev_b32_e32 v55, 2, v55
	v_pack_b32_f16 v53, v53, v54
	v_perm_b32 v54, v73, v51, s12
	ds_write2_b32 v55, v53, v54 offset1:4
.LBB0_33:
	s_or_b64 exec, exec, s[4:5]
	v_add_u32_e32 v105, 0x200, v77
	s_waitcnt lgkmcnt(0)
	; wave barrier
	s_waitcnt lgkmcnt(0)
	ds_read2_b32 v[55:56], v105 offset0:96 offset1:152
	v_add_u32_e32 v106, 0x800, v77
	ds_read2_b32 v[57:58], v106 offset0:48 offset1:104
	v_add_u32_e32 v110, 0xc00, v77
	ds_read2_b32 v[59:60], v110 offset0:16 offset1:72
	s_waitcnt lgkmcnt(2)
	v_lshrrev_b32_e32 v104, 16, v56
	v_add_u32_e32 v111, 0x1000, v77
	ds_read2_b32 v[61:62], v111 offset0:96 offset1:152
	v_mul_f16_sdwa v137, v4, v104 dst_sel:DWORD dst_unused:UNUSED_PAD src0_sel:WORD_1 src1_sel:DWORD
	s_waitcnt lgkmcnt(2)
	v_lshrrev_b32_e32 v112, 16, v57
	v_add_u32_e32 v113, 0x400, v77
	v_fma_f16 v137, v4, v56, v137
	v_mul_f16_sdwa v56, v4, v56 dst_sel:DWORD dst_unused:UNUSED_PAD src0_sel:WORD_1 src1_sel:DWORD
	ds_read2_b32 v[63:64], v113 offset0:80 offset1:136
	v_fma_f16 v56, v4, v104, -v56
	v_mul_f16_sdwa v104, v5, v112 dst_sel:DWORD dst_unused:UNUSED_PAD src0_sel:WORD_1 src1_sel:DWORD
	s_waitcnt lgkmcnt(2)
	v_lshrrev_b32_e32 v114, 16, v60
	v_fma_f16 v104, v5, v57, v104
	v_mul_f16_sdwa v57, v5, v57 dst_sel:DWORD dst_unused:UNUSED_PAD src0_sel:WORD_1 src1_sel:DWORD
	v_fma_f16 v57, v5, v112, -v57
	v_mul_f16_sdwa v112, v6, v114 dst_sel:DWORD dst_unused:UNUSED_PAD src0_sel:WORD_1 src1_sel:DWORD
	s_waitcnt lgkmcnt(1)
	v_lshrrev_b32_e32 v115, 16, v61
	v_fma_f16 v112, v6, v60, v112
	v_mul_f16_sdwa v60, v6, v60 dst_sel:DWORD dst_unused:UNUSED_PAD src0_sel:WORD_1 src1_sel:DWORD
	ds_read2_b32 v[65:66], v110 offset0:128 offset1:184
	v_fma_f16 v60, v6, v114, -v60
	v_mul_f16_sdwa v114, v7, v115 dst_sel:DWORD dst_unused:UNUSED_PAD src0_sel:WORD_1 src1_sel:DWORD
	s_waitcnt lgkmcnt(1)
	v_lshrrev_b32_e32 v117, 16, v63
	v_fma_f16 v114, v7, v61, v114
	v_mul_f16_sdwa v61, v7, v61 dst_sel:DWORD dst_unused:UNUSED_PAD src0_sel:WORD_1 src1_sel:DWORD
	v_fma_f16 v61, v7, v115, -v61
	v_mul_f16_sdwa v115, v4, v117 dst_sel:DWORD dst_unused:UNUSED_PAD src0_sel:WORD_1 src1_sel:DWORD
	v_lshrrev_b32_e32 v118, 16, v58
	v_fma_f16 v115, v4, v63, v115
	v_mul_f16_sdwa v63, v4, v63 dst_sel:DWORD dst_unused:UNUSED_PAD src0_sel:WORD_1 src1_sel:DWORD
	v_fma_f16 v63, v4, v117, -v63
	v_mul_f16_sdwa v117, v5, v118 dst_sel:DWORD dst_unused:UNUSED_PAD src0_sel:WORD_1 src1_sel:DWORD
	s_waitcnt lgkmcnt(0)
	v_lshrrev_b32_e32 v119, 16, v65
	v_fma_f16 v117, v5, v58, v117
	v_mul_f16_sdwa v58, v5, v58 dst_sel:DWORD dst_unused:UNUSED_PAD src0_sel:WORD_1 src1_sel:DWORD
	ds_read2_b32 v[69:70], v106 offset0:160 offset1:216
	v_fma_f16 v58, v5, v118, -v58
	v_mul_f16_sdwa v118, v6, v119 dst_sel:DWORD dst_unused:UNUSED_PAD src0_sel:WORD_1 src1_sel:DWORD
	v_lshrrev_b32_e32 v120, 16, v62
	v_fma_f16 v118, v6, v65, v118
	v_mul_f16_sdwa v65, v6, v65 dst_sel:DWORD dst_unused:UNUSED_PAD src0_sel:WORD_1 src1_sel:DWORD
	v_fma_f16 v65, v6, v119, -v65
	v_mul_f16_sdwa v119, v7, v120 dst_sel:DWORD dst_unused:UNUSED_PAD src0_sel:WORD_1 src1_sel:DWORD
	v_lshrrev_b32_e32 v122, 16, v64
	v_add_u32_e32 v71, 0x1200, v77
	v_fma_f16 v119, v7, v62, v119
	v_mul_f16_sdwa v62, v7, v62 dst_sel:DWORD dst_unused:UNUSED_PAD src0_sel:WORD_1 src1_sel:DWORD
	ds_read2_b32 v[71:72], v71 offset0:80 offset1:136
	v_fma_f16 v62, v7, v120, -v62
	v_mul_f16_sdwa v120, v4, v122 dst_sel:DWORD dst_unused:UNUSED_PAD src0_sel:WORD_1 src1_sel:DWORD
	s_waitcnt lgkmcnt(1)
	v_lshrrev_b32_e32 v123, 16, v69
	v_fma_f16 v120, v4, v64, v120
	v_mul_f16_sdwa v64, v4, v64 dst_sel:DWORD dst_unused:UNUSED_PAD src0_sel:WORD_1 src1_sel:DWORD
	ds_read2_b32 v[74:75], v113 offset0:192 offset1:248
	v_fma_f16 v64, v4, v122, -v64
	v_mul_f16_sdwa v122, v5, v123 dst_sel:DWORD dst_unused:UNUSED_PAD src0_sel:WORD_1 src1_sel:DWORD
	v_lshrrev_b32_e32 v124, 16, v66
	v_fma_f16 v122, v5, v69, v122
	v_mul_f16_sdwa v69, v5, v69 dst_sel:DWORD dst_unused:UNUSED_PAD src0_sel:WORD_1 src1_sel:DWORD
	v_fma_f16 v69, v5, v123, -v69
	v_mul_f16_sdwa v123, v6, v124 dst_sel:DWORD dst_unused:UNUSED_PAD src0_sel:WORD_1 src1_sel:DWORD
	v_add_u32_e32 v108, 0xe00, v77
	s_waitcnt lgkmcnt(1)
	v_lshrrev_b32_e32 v125, 16, v71
	v_fma_f16 v123, v6, v66, v123
	v_mul_f16_sdwa v66, v6, v66 dst_sel:DWORD dst_unused:UNUSED_PAD src0_sel:WORD_1 src1_sel:DWORD
	ds_read2_b32 v[108:109], v108 offset0:112 offset1:168
	v_fma_f16 v66, v6, v124, -v66
	v_mul_f16_sdwa v124, v7, v125 dst_sel:DWORD dst_unused:UNUSED_PAD src0_sel:WORD_1 src1_sel:DWORD
	s_waitcnt lgkmcnt(1)
	v_lshrrev_b32_e32 v127, 16, v74
	v_fma_f16 v124, v7, v71, v124
	v_mul_f16_sdwa v71, v7, v71 dst_sel:DWORD dst_unused:UNUSED_PAD src0_sel:WORD_1 src1_sel:DWORD
	v_fma_f16 v71, v7, v125, -v71
	v_mul_f16_sdwa v125, v4, v127 dst_sel:DWORD dst_unused:UNUSED_PAD src0_sel:WORD_1 src1_sel:DWORD
	v_lshrrev_b32_e32 v128, 16, v70
	v_fma_f16 v125, v4, v74, v125
	v_mul_f16_sdwa v74, v4, v74 dst_sel:DWORD dst_unused:UNUSED_PAD src0_sel:WORD_1 src1_sel:DWORD
	v_fma_f16 v74, v4, v127, -v74
	v_mul_f16_sdwa v127, v5, v128 dst_sel:DWORD dst_unused:UNUSED_PAD src0_sel:WORD_1 src1_sel:DWORD
	s_waitcnt lgkmcnt(0)
	v_lshrrev_b32_e32 v129, 16, v108
	v_fma_f16 v127, v5, v70, v127
	v_mul_f16_sdwa v70, v5, v70 dst_sel:DWORD dst_unused:UNUSED_PAD src0_sel:WORD_1 src1_sel:DWORD
	v_fma_f16 v70, v5, v128, -v70
	v_mul_f16_sdwa v128, v6, v129 dst_sel:DWORD dst_unused:UNUSED_PAD src0_sel:WORD_1 src1_sel:DWORD
	v_lshrrev_b32_e32 v130, 16, v72
	v_fma_f16 v128, v6, v108, v128
	v_mul_f16_sdwa v108, v6, v108 dst_sel:DWORD dst_unused:UNUSED_PAD src0_sel:WORD_1 src1_sel:DWORD
	v_fma_f16 v108, v6, v129, -v108
	v_mul_f16_sdwa v129, v7, v130 dst_sel:DWORD dst_unused:UNUSED_PAD src0_sel:WORD_1 src1_sel:DWORD
	v_lshrrev_b32_e32 v133, 16, v75
	v_fma_f16 v129, v7, v72, v129
	v_mul_f16_sdwa v72, v7, v72 dst_sel:DWORD dst_unused:UNUSED_PAD src0_sel:WORD_1 src1_sel:DWORD
	ds_read_b32 v131, v77 offset:5376
	v_fma_f16 v72, v7, v130, -v72
	v_mul_f16_sdwa v130, v4, v133 dst_sel:DWORD dst_unused:UNUSED_PAD src0_sel:WORD_1 src1_sel:DWORD
	v_lshrrev_b32_e32 v134, 16, v59
	v_fma_f16 v130, v4, v75, v130
	v_mul_f16_sdwa v75, v4, v75 dst_sel:DWORD dst_unused:UNUSED_PAD src0_sel:WORD_1 src1_sel:DWORD
	v_fma_f16 v133, v4, v133, -v75
	v_mul_f16_sdwa v4, v5, v134 dst_sel:DWORD dst_unused:UNUSED_PAD src0_sel:WORD_1 src1_sel:DWORD
	ds_read2_b32 v[53:54], v77 offset1:56
	v_lshrrev_b32_e32 v135, 16, v109
	v_fma_f16 v75, v5, v59, v4
	v_mul_f16_sdwa v4, v5, v59 dst_sel:DWORD dst_unused:UNUSED_PAD src0_sel:WORD_1 src1_sel:DWORD
	v_fma_f16 v59, v5, v134, -v4
	v_mul_f16_sdwa v4, v6, v135 dst_sel:DWORD dst_unused:UNUSED_PAD src0_sel:WORD_1 src1_sel:DWORD
	s_waitcnt lgkmcnt(1)
	v_lshrrev_b32_e32 v136, 16, v131
	v_fma_f16 v134, v6, v109, v4
	v_mul_f16_sdwa v4, v6, v109 dst_sel:DWORD dst_unused:UNUSED_PAD src0_sel:WORD_1 src1_sel:DWORD
	v_fma_f16 v109, v6, v135, -v4
	v_mul_f16_sdwa v4, v7, v136 dst_sel:DWORD dst_unused:UNUSED_PAD src0_sel:WORD_1 src1_sel:DWORD
	v_fma_f16 v135, v7, v131, v4
	v_mul_f16_sdwa v4, v7, v131 dst_sel:DWORD dst_unused:UNUSED_PAD src0_sel:WORD_1 src1_sel:DWORD
	v_fma_f16 v131, v7, v136, -v4
	s_waitcnt lgkmcnt(0)
	v_add_f16_e32 v4, v53, v137
	v_add_f16_e32 v4, v4, v104
	;; [unrolled: 1-line block ×5, first 2 shown]
	v_fma_f16 v4, v4, -0.5, v53
	v_sub_f16_e32 v5, v56, v61
	s_mov_b32 s5, 0xbb9c
	s_movk_i32 s13, 0x3b9c
	v_fma_f16 v6, v5, s5, v4
	v_sub_f16_e32 v7, v57, v60
	s_mov_b32 s4, 0xb8b4
	v_sub_f16_e32 v138, v137, v104
	v_sub_f16_e32 v139, v114, v112
	v_fma_f16 v4, v5, s13, v4
	s_movk_i32 s14, 0x38b4
	v_fma_f16 v6, v7, s4, v6
	v_add_f16_e32 v138, v138, v139
	s_movk_i32 s12, 0x34f2
	v_fma_f16 v4, v7, s14, v4
	v_fma_f16 v139, v138, s12, v6
	;; [unrolled: 1-line block ×3, first 2 shown]
	v_add_f16_e32 v4, v137, v114
	v_fma_f16 v4, v4, -0.5, v53
	v_lshrrev_b32_e32 v76, 16, v53
	v_fma_f16 v6, v7, s13, v4
	v_sub_f16_e32 v53, v104, v137
	v_sub_f16_e32 v140, v112, v114
	v_fma_f16 v4, v7, s5, v4
	v_fma_f16 v6, v5, s4, v6
	v_add_f16_e32 v53, v53, v140
	v_fma_f16 v4, v5, s14, v4
	v_fma_f16 v140, v53, s12, v6
	v_fma_f16 v53, v53, s12, v4
	v_add_f16_e32 v4, v76, v56
	v_add_f16_e32 v4, v4, v57
	;; [unrolled: 1-line block ×5, first 2 shown]
	v_fma_f16 v4, v4, -0.5, v76
	v_sub_f16_e32 v5, v137, v114
	v_fma_f16 v6, v5, s13, v4
	v_sub_f16_e32 v7, v104, v112
	v_sub_f16_e32 v104, v56, v57
	;; [unrolled: 1-line block ×3, first 2 shown]
	v_fma_f16 v4, v5, s5, v4
	v_add_f16_e32 v104, v104, v112
	v_fma_f16 v4, v7, s4, v4
	v_fma_f16 v114, v104, s12, v4
	v_add_f16_e32 v4, v56, v61
	v_fma_f16 v6, v7, s14, v6
	v_fma_f16 v4, v4, -0.5, v76
	v_fma_f16 v112, v104, s12, v6
	v_fma_f16 v6, v7, s5, v4
	v_sub_f16_e32 v56, v57, v56
	v_sub_f16_e32 v57, v60, v61
	v_fma_f16 v4, v7, s13, v4
	v_fma_f16 v6, v5, s14, v6
	v_add_f16_e32 v56, v56, v57
	v_fma_f16 v4, v5, s4, v4
	v_fma_f16 v57, v56, s12, v6
	;; [unrolled: 1-line block ×3, first 2 shown]
	v_add_f16_e32 v4, v54, v115
	v_add_f16_e32 v4, v4, v117
	;; [unrolled: 1-line block ×5, first 2 shown]
	v_fma_f16 v4, v4, -0.5, v54
	v_sub_f16_e32 v5, v63, v62
	v_fma_f16 v6, v5, s5, v4
	v_sub_f16_e32 v7, v58, v65
	v_sub_f16_e32 v61, v115, v117
	;; [unrolled: 1-line block ×3, first 2 shown]
	v_fma_f16 v4, v5, s13, v4
	v_fma_f16 v6, v7, s4, v6
	v_add_f16_e32 v61, v61, v76
	v_fma_f16 v4, v7, s14, v4
	v_fma_f16 v137, v61, s12, v6
	;; [unrolled: 1-line block ×3, first 2 shown]
	v_add_f16_e32 v4, v115, v119
	v_fma_f16 v4, v4, -0.5, v54
	v_lshrrev_b32_e32 v116, 16, v54
	v_fma_f16 v6, v7, s13, v4
	v_sub_f16_e32 v54, v117, v115
	v_sub_f16_e32 v76, v118, v119
	v_fma_f16 v4, v7, s5, v4
	v_fma_f16 v6, v5, s4, v6
	v_add_f16_e32 v54, v54, v76
	v_fma_f16 v4, v5, s14, v4
	v_fma_f16 v142, v54, s12, v6
	;; [unrolled: 1-line block ×3, first 2 shown]
	v_add_f16_e32 v4, v116, v63
	v_add_f16_e32 v4, v4, v58
	;; [unrolled: 1-line block ×5, first 2 shown]
	v_fma_f16 v4, v4, -0.5, v116
	v_sub_f16_e32 v5, v115, v119
	v_fma_f16 v6, v5, s13, v4
	v_sub_f16_e32 v7, v117, v118
	v_sub_f16_e32 v76, v63, v58
	;; [unrolled: 1-line block ×3, first 2 shown]
	v_fma_f16 v4, v5, s5, v4
	ds_read2_b32 v[67:68], v77 offset0:112 offset1:168
	v_add_f16_e32 v76, v76, v104
	v_fma_f16 v4, v7, s4, v4
	v_fma_f16 v117, v76, s12, v4
	v_add_f16_e32 v4, v63, v62
	v_fma_f16 v6, v7, s14, v6
	v_fma_f16 v4, v4, -0.5, v116
	v_fma_f16 v115, v76, s12, v6
	v_fma_f16 v6, v7, s5, v4
	v_sub_f16_e32 v58, v58, v63
	v_sub_f16_e32 v62, v65, v62
	v_fma_f16 v4, v7, s13, v4
	v_fma_f16 v6, v5, s14, v6
	v_add_f16_e32 v58, v58, v62
	v_fma_f16 v4, v5, s4, v4
	v_fma_f16 v62, v58, s12, v6
	;; [unrolled: 1-line block ×3, first 2 shown]
	s_waitcnt lgkmcnt(0)
	v_add_f16_e32 v4, v67, v120
	v_add_f16_e32 v4, v4, v122
	v_add_f16_e32 v4, v4, v123
	v_add_f16_e32 v63, v4, v124
	v_add_f16_e32 v4, v122, v123
	v_fma_f16 v4, v4, -0.5, v67
	v_sub_f16_e32 v5, v64, v71
	v_fma_f16 v6, v5, s5, v4
	v_sub_f16_e32 v7, v69, v66
	v_sub_f16_e32 v65, v120, v122
	;; [unrolled: 1-line block ×3, first 2 shown]
	v_fma_f16 v4, v5, s13, v4
	v_fma_f16 v6, v7, s4, v6
	v_add_f16_e32 v65, v65, v76
	v_fma_f16 v4, v7, s14, v4
	v_fma_f16 v116, v65, s12, v6
	;; [unrolled: 1-line block ×3, first 2 shown]
	v_add_f16_e32 v4, v120, v124
	v_fma_f16 v4, v4, -0.5, v67
	v_lshrrev_b32_e32 v121, 16, v67
	v_fma_f16 v6, v7, s13, v4
	v_sub_f16_e32 v67, v122, v120
	v_sub_f16_e32 v76, v123, v124
	v_fma_f16 v4, v7, s5, v4
	v_fma_f16 v6, v5, s4, v6
	v_add_f16_e32 v67, v67, v76
	v_fma_f16 v4, v5, s14, v4
	v_fma_f16 v118, v67, s12, v6
	v_fma_f16 v67, v67, s12, v4
	v_add_f16_e32 v4, v121, v64
	v_add_f16_e32 v4, v4, v69
	;; [unrolled: 1-line block ×5, first 2 shown]
	v_fma_f16 v4, v4, -0.5, v121
	v_sub_f16_e32 v5, v120, v124
	v_fma_f16 v6, v5, s13, v4
	v_sub_f16_e32 v7, v122, v123
	v_sub_f16_e32 v76, v64, v69
	;; [unrolled: 1-line block ×3, first 2 shown]
	v_fma_f16 v4, v5, s5, v4
	v_add_f16_e32 v76, v76, v104
	v_fma_f16 v4, v7, s4, v4
	v_fma_f16 v122, v76, s12, v4
	v_add_f16_e32 v4, v64, v71
	v_fma_f16 v6, v7, s14, v6
	v_fma_f16 v4, v4, -0.5, v121
	v_fma_f16 v120, v76, s12, v6
	v_fma_f16 v6, v7, s5, v4
	v_sub_f16_e32 v64, v69, v64
	v_sub_f16_e32 v66, v66, v71
	v_fma_f16 v4, v7, s13, v4
	v_fma_f16 v6, v5, s14, v6
	v_add_f16_e32 v64, v64, v66
	v_fma_f16 v4, v5, s4, v4
	v_fma_f16 v66, v64, s12, v6
	v_fma_f16 v64, v64, s12, v4
	v_add_f16_e32 v4, v68, v125
	v_add_f16_e32 v4, v4, v127
	;; [unrolled: 1-line block ×5, first 2 shown]
	v_fma_f16 v4, v4, -0.5, v68
	v_sub_f16_e32 v5, v74, v72
	v_fma_f16 v6, v5, s5, v4
	v_sub_f16_e32 v7, v70, v108
	v_sub_f16_e32 v71, v125, v127
	;; [unrolled: 1-line block ×3, first 2 shown]
	v_fma_f16 v4, v5, s13, v4
	v_fma_f16 v6, v7, s4, v6
	v_add_f16_e32 v71, v71, v76
	v_fma_f16 v4, v7, s14, v4
	v_fma_f16 v121, v71, s12, v6
	;; [unrolled: 1-line block ×3, first 2 shown]
	v_add_f16_e32 v4, v125, v129
	v_fma_f16 v4, v4, -0.5, v68
	v_lshrrev_b32_e32 v126, 16, v68
	v_fma_f16 v6, v7, s13, v4
	v_sub_f16_e32 v68, v127, v125
	v_sub_f16_e32 v76, v128, v129
	v_fma_f16 v4, v7, s5, v4
	v_fma_f16 v6, v5, s4, v6
	v_add_f16_e32 v68, v68, v76
	v_fma_f16 v4, v5, s14, v4
	v_fma_f16 v123, v68, s12, v6
	;; [unrolled: 1-line block ×3, first 2 shown]
	v_add_f16_e32 v4, v126, v74
	v_add_f16_e32 v4, v4, v70
	;; [unrolled: 1-line block ×5, first 2 shown]
	v_fma_f16 v4, v4, -0.5, v126
	v_sub_f16_e32 v5, v125, v129
	v_fma_f16 v6, v5, s13, v4
	v_sub_f16_e32 v7, v127, v128
	v_sub_f16_e32 v76, v74, v70
	;; [unrolled: 1-line block ×3, first 2 shown]
	v_fma_f16 v4, v5, s5, v4
	v_add_f16_e32 v76, v76, v104
	v_fma_f16 v4, v7, s4, v4
	v_fma_f16 v127, v76, s12, v4
	v_add_f16_e32 v4, v74, v72
	v_fma_f16 v6, v7, s14, v6
	v_fma_f16 v4, v4, -0.5, v126
	v_fma_f16 v125, v76, s12, v6
	v_fma_f16 v6, v7, s5, v4
	v_sub_f16_e32 v70, v70, v74
	v_sub_f16_e32 v72, v108, v72
	v_fma_f16 v4, v7, s13, v4
	v_fma_f16 v6, v5, s14, v6
	v_add_f16_e32 v70, v70, v72
	v_fma_f16 v4, v5, s4, v4
	v_fma_f16 v72, v70, s12, v6
	;; [unrolled: 1-line block ×3, first 2 shown]
	v_add_f16_e32 v4, v55, v130
	v_add_f16_e32 v4, v4, v75
	;; [unrolled: 1-line block ×5, first 2 shown]
	v_fma_f16 v5, v4, -0.5, v55
	v_sub_f16_e32 v6, v133, v131
	v_fma_f16 v4, v6, s5, v5
	v_sub_f16_e32 v74, v59, v109
	v_sub_f16_e32 v7, v130, v75
	;; [unrolled: 1-line block ×3, first 2 shown]
	v_fma_f16 v5, v6, s13, v5
	v_fma_f16 v4, v74, s4, v4
	v_add_f16_e32 v7, v7, v76
	v_fma_f16 v5, v74, s14, v5
	v_fma_f16 v4, v7, s12, v4
	;; [unrolled: 1-line block ×3, first 2 shown]
	v_add_f16_e32 v5, v130, v135
	v_lshrrev_b32_e32 v132, 16, v55
	v_fma_f16 v55, v5, -0.5, v55
	v_fma_f16 v5, v74, s13, v55
	v_sub_f16_e32 v76, v75, v130
	v_sub_f16_e32 v104, v134, v135
	v_fma_f16 v55, v74, s5, v55
	v_fma_f16 v5, v6, s4, v5
	v_add_f16_e32 v76, v76, v104
	v_fma_f16 v6, v6, s14, v55
	v_add_f16_e32 v74, v59, v109
	v_fma_f16 v5, v76, s12, v5
	v_fma_f16 v6, v76, s12, v6
	v_fma_f16 v76, v74, -0.5, v132
	v_sub_f16_e32 v126, v130, v135
	v_fma_f16 v74, v126, s13, v76
	v_sub_f16_e32 v128, v75, v134
	v_sub_f16_e32 v75, v133, v59
	;; [unrolled: 1-line block ×3, first 2 shown]
	v_fma_f16 v76, v126, s5, v76
	v_fma_f16 v74, v128, s14, v74
	v_add_f16_e32 v75, v75, v104
	v_fma_f16 v76, v128, s4, v76
	v_add_f16_e32 v55, v132, v133
	v_fma_f16 v74, v75, s12, v74
	v_fma_f16 v75, v75, s12, v76
	v_add_f16_e32 v76, v133, v131
	v_add_f16_e32 v55, v55, v59
	v_fma_f16 v76, v76, -0.5, v132
	v_add_f16_e32 v55, v55, v109
	v_fma_f16 v104, v128, s5, v76
	v_sub_f16_e32 v59, v59, v133
	v_sub_f16_e32 v109, v109, v131
	v_fma_f16 v76, v128, s13, v76
	v_pack_b32_f16 v57, v140, v57
	v_pack_b32_f16 v53, v53, v56
	v_fma_f16 v104, v126, s14, v104
	v_add_f16_e32 v59, v59, v109
	v_fma_f16 v76, v126, s4, v76
	s_waitcnt lgkmcnt(0)
	; wave barrier
	ds_write2_b32 v145, v57, v53 offset0:16 offset1:24
	v_pack_b32_f16 v53, v138, v114
	v_fma_f16 v104, v59, s12, v104
	v_fma_f16 v76, v59, s12, v76
	v_pack_b32_f16 v59, v136, v141
	v_pack_b32_f16 v109, v139, v112
	ds_write_b32 v145, v53 offset:128
	v_pack_b32_f16 v53, v60, v143
	v_pack_b32_f16 v56, v137, v115
	ds_write2_b32 v145, v59, v109 offset1:8
	ds_write2_b32 v146, v53, v56 offset1:8
	v_pack_b32_f16 v53, v142, v62
	v_pack_b32_f16 v54, v54, v58
	ds_write2_b32 v146, v53, v54 offset0:16 offset1:24
	v_pack_b32_f16 v53, v61, v117
	ds_write_b32 v146, v53 offset:128
	v_pack_b32_f16 v53, v63, v119
	v_pack_b32_f16 v54, v116, v120
	ds_write2_b32 v147, v53, v54 offset1:8
	v_pack_b32_f16 v53, v118, v66
	v_pack_b32_f16 v54, v67, v64
	ds_write2_b32 v147, v53, v54 offset0:16 offset1:24
	v_pack_b32_f16 v53, v65, v122
	ds_write_b32 v147, v53 offset:128
	v_pack_b32_f16 v53, v69, v124
	v_pack_b32_f16 v54, v121, v125
	ds_write2_b32 v148, v53, v54 offset1:8
	v_pack_b32_f16 v53, v123, v72
	v_pack_b32_f16 v54, v68, v70
	v_add_f16_e32 v55, v55, v131
	ds_write2_b32 v148, v53, v54 offset0:16 offset1:24
	v_pack_b32_f16 v53, v71, v127
	ds_write_b32 v148, v53 offset:128
	v_pack_b32_f16 v53, v108, v55
	v_pack_b32_f16 v54, v4, v74
	ds_write2_b32 v149, v53, v54 offset1:8
	v_pack_b32_f16 v53, v5, v104
	v_pack_b32_f16 v54, v6, v76
	ds_write2_b32 v149, v53, v54 offset0:16 offset1:24
	v_pack_b32_f16 v53, v7, v75
	ds_write_b32 v149, v53 offset:128
	s_waitcnt lgkmcnt(0)
	; wave barrier
	s_waitcnt lgkmcnt(0)
	ds_read2_b32 v[55:56], v77 offset1:56
	ds_read2_b32 v[53:54], v77 offset0:112 offset1:200
	ds_read2_b32 v[71:72], v113 offset0:144 offset1:200
	ds_read2_b32 v[59:60], v106 offset1:88
	ds_read2_b32 v[69:70], v110 offset0:32 offset1:88
	ds_read2_b32 v[57:58], v110 offset0:144 offset1:232
	;; [unrolled: 1-line block ×3, first 2 shown]
	ds_read2_b32 v[65:66], v113 offset1:56
	ds_read2_b32 v[63:64], v106 offset0:144 offset1:200
	ds_read2_b32 v[61:62], v111 offset0:32 offset1:88
	ds_read_b32 v106, v77 offset:5248
	s_and_saveexec_b64 s[4:5], s[2:3]
	s_cbranch_execz .LBB0_35
; %bb.34:
	v_add_u32_e32 v6, 0x880, v77
	v_add_u32_e32 v51, 0xf00, v77
	ds_read2_b32 v[4:5], v105 offset0:40 offset1:240
	ds_read2_b32 v[6:7], v6 offset0:24 offset1:224
	;; [unrolled: 1-line block ×3, first 2 shown]
	ds_read_b32 v151, v77 offset:5472
	s_waitcnt lgkmcnt(3)
	v_lshrrev_b32_e32 v74, 16, v4
	v_lshrrev_b32_e32 v104, 16, v5
	s_waitcnt lgkmcnt(2)
	v_lshrrev_b32_e32 v76, 16, v6
	v_lshrrev_b32_e32 v75, 16, v7
	;; [unrolled: 3-line block ×3, first 2 shown]
	s_waitcnt lgkmcnt(0)
	v_lshrrev_b32_e32 v152, 16, v151
.LBB0_35:
	s_or_b64 exec, exec, s[4:5]
	s_waitcnt lgkmcnt(9)
	v_lshrrev_b32_e32 v105, 16, v54
	v_mul_f16_sdwa v125, v8, v105 dst_sel:DWORD dst_unused:UNUSED_PAD src0_sel:WORD_1 src1_sel:DWORD
	s_waitcnt lgkmcnt(8)
	v_lshrrev_b32_e32 v108, 16, v71
	v_fma_f16 v125, v8, v54, v125
	v_mul_f16_sdwa v54, v8, v54 dst_sel:DWORD dst_unused:UNUSED_PAD src0_sel:WORD_1 src1_sel:DWORD
	v_fma_f16 v8, v8, v105, -v54
	v_mul_f16_sdwa v54, v9, v108 dst_sel:DWORD dst_unused:UNUSED_PAD src0_sel:WORD_1 src1_sel:DWORD
	s_waitcnt lgkmcnt(7)
	v_lshrrev_b32_e32 v109, 16, v60
	v_fma_f16 v54, v9, v71, v54
	v_mul_f16_sdwa v71, v9, v71 dst_sel:DWORD dst_unused:UNUSED_PAD src0_sel:WORD_1 src1_sel:DWORD
	v_fma_f16 v9, v9, v108, -v71
	;; [unrolled: 6-line block ×6, first 2 shown]
	v_mul_f16_sdwa v67, v12, v113 dst_sel:DWORD dst_unused:UNUSED_PAD src0_sel:WORD_1 src1_sel:DWORD
	v_lshrrev_b32_e32 v114, 16, v72
	v_fma_f16 v67, v12, v65, v67
	v_mul_f16_sdwa v65, v12, v65 dst_sel:DWORD dst_unused:UNUSED_PAD src0_sel:WORD_1 src1_sel:DWORD
	v_fma_f16 v12, v12, v113, -v65
	v_mul_f16_sdwa v65, v13, v114 dst_sel:DWORD dst_unused:UNUSED_PAD src0_sel:WORD_1 src1_sel:DWORD
	s_waitcnt lgkmcnt(2)
	v_lshrrev_b32_e32 v115, 16, v63
	v_fma_f16 v65, v13, v72, v65
	v_mul_f16_sdwa v72, v13, v72 dst_sel:DWORD dst_unused:UNUSED_PAD src0_sel:WORD_1 src1_sel:DWORD
	v_fma_f16 v13, v13, v114, -v72
	v_mul_f16_sdwa v72, v14, v115 dst_sel:DWORD dst_unused:UNUSED_PAD src0_sel:WORD_1 src1_sel:DWORD
	v_lshrrev_b32_e32 v116, 16, v70
	v_fma_f16 v72, v14, v63, v72
	v_mul_f16_sdwa v63, v14, v63 dst_sel:DWORD dst_unused:UNUSED_PAD src0_sel:WORD_1 src1_sel:DWORD
	v_fma_f16 v14, v14, v115, -v63
	v_mul_f16_sdwa v63, v15, v116 dst_sel:DWORD dst_unused:UNUSED_PAD src0_sel:WORD_1 src1_sel:DWORD
	s_waitcnt lgkmcnt(1)
	v_lshrrev_b32_e32 v117, 16, v61
	v_fma_f16 v63, v15, v70, v63
	v_mul_f16_sdwa v70, v15, v70 dst_sel:DWORD dst_unused:UNUSED_PAD src0_sel:WORD_1 src1_sel:DWORD
	v_fma_f16 v15, v15, v116, -v70
	v_mul_f16_sdwa v70, v47, v117 dst_sel:DWORD dst_unused:UNUSED_PAD src0_sel:WORD_1 src1_sel:DWORD
	v_lshrrev_b32_e32 v118, 16, v68
	v_fma_f16 v70, v47, v61, v70
	v_mul_f16_sdwa v61, v47, v61 dst_sel:DWORD dst_unused:UNUSED_PAD src0_sel:WORD_1 src1_sel:DWORD
	v_fma_f16 v47, v47, v117, -v61
	v_mul_f16_sdwa v61, v48, v118 dst_sel:DWORD dst_unused:UNUSED_PAD src0_sel:WORD_1 src1_sel:DWORD
	;; [unrolled: 5-line block ×7, first 2 shown]
	s_waitcnt lgkmcnt(0)
	v_lshrrev_b32_e32 v124, 16, v106
	v_fma_f16 v57, v49, v62, v57
	v_mul_f16_sdwa v62, v49, v62 dst_sel:DWORD dst_unused:UNUSED_PAD src0_sel:WORD_1 src1_sel:DWORD
	v_fma_f16 v49, v49, v123, -v62
	v_mul_f16_sdwa v62, v50, v124 dst_sel:DWORD dst_unused:UNUSED_PAD src0_sel:WORD_1 src1_sel:DWORD
	v_mul_f16_sdwa v105, v50, v106 dst_sel:DWORD dst_unused:UNUSED_PAD src0_sel:WORD_1 src1_sel:DWORD
	v_fma_f16 v62, v50, v106, v62
	v_fma_f16 v50, v50, v124, -v105
	v_add_f16_e32 v105, v125, v58
	v_add_f16_e32 v106, v8, v46
	v_sub_f16_e32 v8, v8, v46
	v_add_f16_e32 v46, v54, v69
	v_add_f16_e32 v108, v9, v45
	v_sub_f16_e32 v58, v125, v58
	v_sub_f16_e32 v54, v54, v69
	v_sub_f16_e32 v9, v9, v45
	v_add_f16_e32 v45, v71, v60
	v_add_f16_e32 v69, v10, v11
	v_sub_f16_e32 v60, v60, v71
	v_sub_f16_e32 v10, v11, v10
	v_add_f16_e32 v11, v46, v105
	v_add_f16_e32 v71, v108, v106
	v_sub_f16_e32 v109, v46, v105
	v_sub_f16_e32 v110, v108, v106
	;; [unrolled: 1-line block ×6, first 2 shown]
	v_add_f16_e32 v111, v60, v54
	v_add_f16_e32 v112, v10, v9
	v_sub_f16_e32 v113, v60, v54
	v_sub_f16_e32 v114, v10, v9
	;; [unrolled: 1-line block ×4, first 2 shown]
	v_add_f16_e32 v11, v45, v11
	v_add_f16_e32 v45, v69, v71
	v_sub_f16_e32 v60, v58, v60
	v_sub_f16_e32 v10, v8, v10
	v_add_f16_e32 v58, v111, v58
	v_add_f16_e32 v8, v112, v8
	;; [unrolled: 1-line block ×3, first 2 shown]
	v_add_f16_sdwa v55, v55, v45 dst_sel:DWORD dst_unused:UNUSED_PAD src0_sel:WORD_1 src1_sel:DWORD
	v_mul_f16_e32 v71, 0x3a52, v105
	v_mul_f16_e32 v105, 0x3a52, v106
	s_movk_i32 s17, 0x2b26
	v_mul_f16_e32 v106, 0x2b26, v46
	v_mul_f16_e32 v111, 0x2b26, v108
	;; [unrolled: 1-line block ×4, first 2 shown]
	s_mov_b32 s12, 0xbb00
	v_mul_f16_e32 v114, 0xbb00, v54
	v_mul_f16_e32 v115, 0xbb00, v9
	s_mov_b32 s18, 0xbcab
	s_movk_i32 s13, 0x39e0
	s_mov_b32 s14, 0xb9e0
	s_mov_b32 s19, 0xb574
	s_movk_i32 s15, 0x3574
	v_fma_f16 v11, v11, s18, v69
	v_fma_f16 v45, v45, s18, v55
	;; [unrolled: 1-line block ×4, first 2 shown]
	v_fma_f16 v106, v109, s13, -v106
	v_fma_f16 v111, v110, s13, -v111
	;; [unrolled: 1-line block ×4, first 2 shown]
	v_fma_f16 v109, v60, s19, v112
	v_fma_f16 v110, v10, s19, v113
	v_fma_f16 v54, v54, s12, -v112
	v_fma_f16 v9, v9, s12, -v113
	;; [unrolled: 1-line block ×4, first 2 shown]
	s_mov_b32 s16, 0xb70e
	v_add_f16_e32 v46, v46, v11
	v_add_f16_e32 v108, v108, v45
	v_add_f16_e32 v106, v106, v11
	v_add_f16_e32 v111, v111, v45
	v_add_f16_e32 v11, v71, v11
	v_add_f16_e32 v45, v105, v45
	v_fma_f16 v71, v58, s16, v109
	v_fma_f16 v105, v8, s16, v110
	;; [unrolled: 1-line block ×6, first 2 shown]
	v_add_f16_e32 v10, v105, v46
	v_sub_f16_e32 v60, v108, v71
	v_add_f16_e32 v109, v8, v11
	v_sub_f16_e32 v110, v45, v58
	v_sub_f16_e32 v8, v11, v8
	v_add_f16_e32 v11, v58, v45
	v_sub_f16_e32 v45, v46, v105
	v_add_f16_e32 v46, v71, v108
	v_add_f16_e32 v58, v67, v61
	;; [unrolled: 1-line block ×3, first 2 shown]
	v_sub_f16_e32 v61, v67, v61
	v_sub_f16_e32 v12, v12, v48
	v_add_f16_e32 v48, v65, v70
	v_add_f16_e32 v67, v13, v47
	v_sub_f16_e32 v65, v65, v70
	v_sub_f16_e32 v13, v13, v47
	v_add_f16_e32 v47, v72, v63
	v_add_f16_e32 v70, v14, v15
	;; [unrolled: 4-line block ×3, first 2 shown]
	v_sub_f16_e32 v112, v106, v9
	v_add_f16_e32 v113, v54, v111
	v_add_f16_e32 v9, v9, v106
	v_sub_f16_e32 v54, v111, v54
	v_sub_f16_e32 v105, v48, v58
	;; [unrolled: 1-line block ×7, first 2 shown]
	v_add_f16_e32 v108, v63, v65
	v_add_f16_e32 v111, v14, v13
	v_sub_f16_e32 v114, v63, v65
	v_sub_f16_e32 v115, v14, v13
	;; [unrolled: 1-line block ×4, first 2 shown]
	v_add_f16_e32 v15, v47, v15
	v_add_f16_e32 v47, v70, v72
	v_sub_f16_e32 v63, v61, v63
	v_sub_f16_e32 v14, v12, v14
	v_add_f16_e32 v61, v108, v61
	v_add_f16_e32 v12, v111, v12
	v_add_f16_e32 v70, v56, v15
	v_add_f16_sdwa v56, v56, v47 dst_sel:DWORD dst_unused:UNUSED_PAD src0_sel:WORD_1 src1_sel:DWORD
	v_mul_f16_e32 v58, 0x3a52, v58
	v_mul_f16_e32 v71, 0x3a52, v71
	v_mul_f16_e32 v72, 0x2b26, v48
	v_mul_f16_e32 v108, 0x2b26, v67
	v_mul_f16_e32 v111, 0x3846, v114
	v_mul_f16_e32 v114, 0x3846, v115
	v_mul_f16_e32 v115, 0xbb00, v65
	v_mul_f16_e32 v116, 0xbb00, v13
	v_fma_f16 v15, v15, s18, v70
	v_fma_f16 v47, v47, s18, v56
	;; [unrolled: 1-line block ×4, first 2 shown]
	v_fma_f16 v72, v105, s13, -v72
	v_fma_f16 v108, v106, s13, -v108
	;; [unrolled: 1-line block ×4, first 2 shown]
	v_fma_f16 v105, v63, s19, v111
	v_fma_f16 v106, v14, s19, v114
	v_fma_f16 v65, v65, s12, -v111
	v_fma_f16 v13, v13, s12, -v114
	;; [unrolled: 1-line block ×4, first 2 shown]
	v_add_f16_e32 v48, v48, v15
	v_add_f16_e32 v67, v67, v47
	;; [unrolled: 1-line block ×6, first 2 shown]
	v_fma_f16 v58, v61, s16, v105
	v_fma_f16 v71, v12, s16, v106
	;; [unrolled: 1-line block ×6, first 2 shown]
	v_add_f16_e32 v14, v71, v48
	v_sub_f16_e32 v63, v67, v58
	v_add_f16_e32 v105, v12, v15
	v_sub_f16_e32 v106, v47, v61
	v_sub_f16_e32 v12, v15, v12
	v_add_f16_e32 v15, v61, v47
	v_sub_f16_e32 v47, v48, v71
	v_add_f16_e32 v48, v58, v67
	v_add_f16_e32 v58, v68, v62
	;; [unrolled: 1-line block ×3, first 2 shown]
	v_sub_f16_e32 v16, v16, v50
	v_add_f16_e32 v50, v66, v57
	v_add_f16_e32 v67, v17, v49
	v_sub_f16_e32 v57, v66, v57
	v_sub_f16_e32 v17, v17, v49
	v_add_f16_e32 v49, v59, v64
	v_add_f16_e32 v66, v18, v19
	v_sub_f16_e32 v59, v64, v59
	v_sub_f16_e32 v18, v19, v18
	v_add_f16_e32 v19, v50, v58
	v_add_f16_e32 v64, v67, v61
	v_pack_b32_f16 v9, v9, v54
	v_pack_b32_f16 v8, v8, v11
	v_sub_f16_e32 v111, v72, v13
	v_add_f16_e32 v114, v65, v108
	v_add_f16_e32 v13, v13, v72
	v_sub_f16_e32 v65, v108, v65
	v_sub_f16_e32 v62, v68, v62
	;; [unrolled: 1-line block ×8, first 2 shown]
	v_add_f16_e32 v72, v59, v57
	v_add_f16_e32 v108, v18, v17
	v_sub_f16_e32 v115, v59, v57
	v_sub_f16_e32 v116, v18, v17
	v_add_f16_e32 v19, v49, v19
	v_add_f16_e32 v49, v66, v64
	s_waitcnt lgkmcnt(0)
	; wave barrier
	v_pack_b32_f16 v55, v69, v55
	v_pack_b32_f16 v10, v10, v60
	ds_write2_b32 v153, v9, v8 offset0:160 offset1:200
	v_pack_b32_f16 v8, v45, v46
	v_sub_f16_e32 v59, v62, v59
	v_sub_f16_e32 v18, v16, v18
	;; [unrolled: 1-line block ×4, first 2 shown]
	v_add_f16_e32 v62, v72, v62
	v_add_f16_e32 v16, v108, v16
	;; [unrolled: 1-line block ×3, first 2 shown]
	v_add_f16_sdwa v53, v53, v49 dst_sel:DWORD dst_unused:UNUSED_PAD src0_sel:WORD_1 src1_sel:DWORD
	v_mul_f16_e32 v58, 0x3a52, v58
	v_mul_f16_e32 v61, 0x3a52, v61
	;; [unrolled: 1-line block ×6, first 2 shown]
	ds_write2_b32 v153, v55, v10 offset1:40
	v_pack_b32_f16 v10, v109, v110
	v_pack_b32_f16 v55, v112, v113
	ds_write_b32 v153, v8 offset:960
	v_pack_b32_f16 v8, v70, v56
	v_pack_b32_f16 v9, v14, v63
	v_mul_f16_e32 v116, 0xbb00, v57
	v_mul_f16_e32 v117, 0xbb00, v17
	v_fma_f16 v19, v19, s18, v64
	v_fma_f16 v49, v49, s18, v53
	;; [unrolled: 1-line block ×4, first 2 shown]
	v_fma_f16 v66, v68, s13, -v66
	v_fma_f16 v72, v71, s13, -v72
	;; [unrolled: 1-line block ×4, first 2 shown]
	v_fma_f16 v68, v59, s19, v108
	v_fma_f16 v71, v18, s19, v115
	ds_write2_b32 v153, v10, v55 offset0:80 offset1:120
	ds_write2_b32 v154, v8, v9 offset1:40
	v_pack_b32_f16 v8, v105, v106
	v_pack_b32_f16 v9, v111, v114
	v_fma_f16 v57, v57, s12, -v108
	v_fma_f16 v17, v17, s12, -v115
	;; [unrolled: 1-line block ×4, first 2 shown]
	v_add_f16_e32 v50, v50, v19
	v_add_f16_e32 v67, v67, v49
	v_add_f16_e32 v66, v66, v19
	v_add_f16_e32 v72, v72, v49
	v_add_f16_e32 v19, v58, v19
	v_add_f16_e32 v49, v61, v49
	v_fma_f16 v58, v62, s16, v68
	v_fma_f16 v61, v16, s16, v71
	ds_write2_b32 v154, v8, v9 offset0:80 offset1:120
	v_pack_b32_f16 v8, v13, v65
	v_pack_b32_f16 v9, v12, v15
	v_fma_f16 v57, v62, s16, v57
	v_fma_f16 v17, v16, s16, v17
	;; [unrolled: 1-line block ×4, first 2 shown]
	v_add_f16_e32 v18, v61, v50
	v_sub_f16_e32 v62, v67, v58
	ds_write2_b32 v154, v8, v9 offset0:160 offset1:200
	v_pack_b32_f16 v8, v47, v48
	v_add_f16_e32 v68, v16, v19
	v_sub_f16_e32 v71, v49, v59
	v_sub_f16_e32 v108, v66, v17
	v_add_f16_e32 v115, v57, v72
	ds_write_b32 v154, v8 offset:960
	v_pack_b32_f16 v8, v64, v53
	v_pack_b32_f16 v9, v18, v62
	v_add_f16_e32 v17, v17, v66
	v_sub_f16_e32 v57, v72, v57
	v_sub_f16_e32 v16, v19, v16
	v_add_f16_e32 v19, v59, v49
	ds_write2_b32 v155, v8, v9 offset1:40
	v_pack_b32_f16 v8, v68, v71
	v_pack_b32_f16 v9, v108, v115
	v_sub_f16_e32 v49, v50, v61
	v_add_f16_e32 v50, v58, v67
	ds_write2_b32 v155, v8, v9 offset0:80 offset1:120
	v_pack_b32_f16 v8, v17, v57
	v_pack_b32_f16 v9, v16, v19
	ds_write2_b32 v155, v8, v9 offset0:160 offset1:200
	v_pack_b32_f16 v8, v49, v50
	ds_write_b32 v155, v8 offset:960
	s_and_saveexec_b64 s[4:5], s[2:3]
	s_cbranch_execz .LBB0_37
; %bb.36:
	v_mul_f16_sdwa v12, v2, v75 dst_sel:DWORD dst_unused:UNUSED_PAD src0_sel:WORD_1 src1_sel:DWORD
	v_mul_f16_sdwa v8, v0, v104 dst_sel:DWORD dst_unused:UNUSED_PAD src0_sel:WORD_1 src1_sel:DWORD
	v_fma_f16 v12, v2, v7, v12
	v_mul_f16_sdwa v15, v1, v76 dst_sel:DWORD dst_unused:UNUSED_PAD src0_sel:WORD_1 src1_sel:DWORD
	v_mul_f16_sdwa v7, v2, v7 dst_sel:DWORD dst_unused:UNUSED_PAD src0_sel:WORD_1 src1_sel:DWORD
	v_fma_f16 v8, v0, v5, v8
	;; [unrolled: 3-line block ×3, first 2 shown]
	v_mul_f16_sdwa v16, v43, v150 dst_sel:DWORD dst_unused:UNUSED_PAD src0_sel:WORD_1 src1_sel:DWORD
	v_mul_f16_sdwa v45, v44, v151 dst_sel:DWORD dst_unused:UNUSED_PAD src0_sel:WORD_1 src1_sel:DWORD
	;; [unrolled: 1-line block ×3, first 2 shown]
	v_fma_f16 v2, v2, v75, -v7
	v_mul_f16_sdwa v7, v3, v51 dst_sel:DWORD dst_unused:UNUSED_PAD src0_sel:WORD_1 src1_sel:DWORD
	v_mul_f16_sdwa v46, v43, v52 dst_sel:DWORD dst_unused:UNUSED_PAD src0_sel:WORD_1 src1_sel:DWORD
	;; [unrolled: 1-line block ×3, first 2 shown]
	v_fma_f16 v9, v44, v151, v9
	v_fma_f16 v11, v3, v51, v11
	;; [unrolled: 1-line block ×3, first 2 shown]
	v_fma_f16 v44, v44, v152, -v45
	v_fma_f16 v0, v0, v104, -v5
	;; [unrolled: 1-line block ×5, first 2 shown]
	v_add_f16_e32 v5, v44, v0
	v_add_f16_e32 v7, v3, v2
	;; [unrolled: 1-line block ×3, first 2 shown]
	v_sub_f16_e32 v0, v0, v44
	v_sub_f16_e32 v2, v3, v2
	;; [unrolled: 1-line block ×6, first 2 shown]
	v_add_f16_e32 v48, v6, v5
	v_add_f16_e32 v8, v9, v8
	;; [unrolled: 1-line block ×4, first 2 shown]
	v_sub_f16_e32 v3, v0, v2
	v_sub_f16_e32 v43, v2, v1
	v_add_f16_e32 v2, v2, v1
	v_sub_f16_e32 v14, v10, v13
	v_sub_f16_e32 v18, v13, v17
	v_add_f16_e32 v13, v13, v17
	;; [unrolled: 3-line block ×3, first 2 shown]
	v_add_f16_e32 v50, v12, v8
	v_add_f16_e32 v2, v2, v0
	v_sub_f16_e32 v0, v1, v0
	v_add_f16_e32 v13, v13, v10
	v_mul_f16_e32 v45, 0x3a52, v45
	v_mul_f16_e32 v47, 0x2b26, v46
	v_add_f16_e32 v48, v74, v7
	v_sub_f16_e32 v11, v8, v9
	v_sub_f16_e32 v15, v9, v12
	v_add_f16_e32 v9, v9, v50
	v_mul_f16_e32 v43, 0x3846, v43
	v_sub_f16_e32 v10, v17, v10
	v_sub_f16_e32 v5, v6, v5
	v_mul_f16_e32 v1, 0xbb00, v0
	v_mul_f16_e32 v18, 0x3846, v18
	v_fma_f16 v46, v46, s17, v45
	v_fma_f16 v7, v7, s18, v48
	v_mul_f16_e32 v11, 0x3a52, v11
	v_mul_f16_e32 v16, 0x2b26, v15
	v_add_f16_e32 v4, v4, v9
	v_fma_f16 v44, v3, s19, v43
	v_mul_f16_e32 v17, 0xbb00, v10
	v_fma_f16 v6, v5, s14, -v45
	v_sub_f16_e32 v8, v12, v8
	v_fma_f16 v1, v3, s15, -v1
	v_fma_f16 v5, v5, s13, -v47
	v_fma_f16 v0, v0, s12, -v43
	v_fma_f16 v19, v14, s19, v18
	v_add_f16_e32 v46, v46, v7
	v_fma_f16 v15, v15, s17, v11
	v_fma_f16 v9, v9, s18, v4
	;; [unrolled: 1-line block ×3, first 2 shown]
	v_fma_f16 v14, v14, s15, -v17
	v_add_f16_e32 v6, v6, v7
	v_fma_f16 v11, v8, s14, -v11
	v_fma_f16 v1, v2, s16, v1
	v_add_f16_e32 v5, v5, v7
	v_fma_f16 v7, v10, s12, -v18
	v_fma_f16 v0, v2, s16, v0
	v_fma_f16 v2, v8, s13, -v16
	v_fma_f16 v19, v13, s16, v19
	v_add_f16_e32 v15, v15, v9
	v_fma_f16 v14, v13, s16, v14
	v_add_f16_e32 v11, v11, v9
	;; [unrolled: 2-line block ×3, first 2 shown]
	v_mov_b32_e32 v9, 2
	v_add_f16_e32 v17, v14, v6
	v_sub_f16_e32 v3, v11, v1
	v_sub_f16_e32 v10, v5, v7
	v_add_f16_e32 v8, v0, v2
	v_add_f16_e32 v5, v7, v5
	v_sub_f16_e32 v0, v2, v0
	v_sub_f16_e32 v2, v6, v14
	v_add_f16_e32 v1, v1, v11
	v_sub_f16_e32 v6, v46, v19
	v_add_f16_e32 v7, v44, v15
	v_lshlrev_b32_sdwa v9, v9, v107 dst_sel:DWORD dst_unused:UNUSED_PAD src0_sel:DWORD src1_sel:BYTE_0
	v_pack_b32_f16 v6, v7, v6
	v_add_u32_e32 v7, 0x1000, v9
	v_pack_b32_f16 v1, v1, v2
	v_pack_b32_f16 v0, v0, v5
	v_add_f16_e32 v49, v19, v46
	v_sub_f16_e32 v50, v15, v44
	ds_write2_b32 v7, v1, v0 offset0:176 offset1:216
	v_pack_b32_f16 v0, v8, v10
	v_pack_b32_f16 v1, v3, v17
	v_add_u32_e32 v2, 0x1400, v9
	v_pack_b32_f16 v4, v4, v48
	ds_write2_b32 v2, v0, v1 offset1:40
	v_pack_b32_f16 v0, v50, v49
	ds_write2_b32 v7, v4, v6 offset0:96 offset1:136
	ds_write_b32 v9, v0 offset:5440
.LBB0_37:
	s_or_b64 exec, exec, s[4:5]
	v_add_u32_e32 v10, 0x200, v77
	s_waitcnt lgkmcnt(0)
	; wave barrier
	s_waitcnt lgkmcnt(0)
	ds_read2_b32 v[6:7], v10 offset0:96 offset1:152
	v_add_u32_e32 v1, 0x800, v77
	ds_read2_b32 v[11:12], v1 offset0:48 offset1:104
	v_add_u32_e32 v9, 0xc00, v77
	v_add_u32_e32 v4, 0x1000, v77
	ds_read2_b32 v[13:14], v9 offset0:16 offset1:72
	ds_read2_b32 v[15:16], v4 offset0:96 offset1:152
	s_waitcnt lgkmcnt(3)
	v_lshrrev_b32_e32 v19, 16, v7
	v_add_u32_e32 v5, 0x400, v77
	ds_read2_b32 v[17:18], v5 offset0:80 offset1:136
	v_mul_f16_sdwa v106, v20, v19 dst_sel:DWORD dst_unused:UNUSED_PAD src0_sel:WORD_1 src1_sel:DWORD
	s_waitcnt lgkmcnt(3)
	v_lshrrev_b32_e32 v55, 16, v11
	v_fma_f16 v106, v20, v7, v106
	v_mul_f16_sdwa v7, v20, v7 dst_sel:DWORD dst_unused:UNUSED_PAD src0_sel:WORD_1 src1_sel:DWORD
	ds_read2_b32 v[43:44], v9 offset0:128 offset1:184
	v_fma_f16 v7, v20, v19, -v7
	v_mul_f16_sdwa v19, v21, v55 dst_sel:DWORD dst_unused:UNUSED_PAD src0_sel:WORD_1 src1_sel:DWORD
	s_waitcnt lgkmcnt(3)
	v_lshrrev_b32_e32 v56, 16, v14
	s_waitcnt lgkmcnt(2)
	v_lshrrev_b32_e32 v57, 16, v15
	v_fma_f16 v19, v21, v11, v19
	v_mul_f16_sdwa v11, v21, v11 dst_sel:DWORD dst_unused:UNUSED_PAD src0_sel:WORD_1 src1_sel:DWORD
	v_fma_f16 v11, v21, v55, -v11
	v_mul_f16_sdwa v20, v22, v56 dst_sel:DWORD dst_unused:UNUSED_PAD src0_sel:WORD_1 src1_sel:DWORD
	v_mul_f16_sdwa v21, v23, v57 dst_sel:DWORD dst_unused:UNUSED_PAD src0_sel:WORD_1 src1_sel:DWORD
	s_waitcnt lgkmcnt(1)
	v_lshrrev_b32_e32 v59, 16, v17
	v_lshrrev_b32_e32 v60, 16, v12
	v_fma_f16 v20, v22, v14, v20
	v_mul_f16_sdwa v14, v22, v14 dst_sel:DWORD dst_unused:UNUSED_PAD src0_sel:WORD_1 src1_sel:DWORD
	v_fma_f16 v21, v23, v15, v21
	v_mul_f16_sdwa v15, v23, v15 dst_sel:DWORD dst_unused:UNUSED_PAD src0_sel:WORD_1 src1_sel:DWORD
	v_fma_f16 v14, v22, v56, -v14
	v_fma_f16 v15, v23, v57, -v15
	v_mul_f16_sdwa v22, v24, v59 dst_sel:DWORD dst_unused:UNUSED_PAD src0_sel:WORD_1 src1_sel:DWORD
	v_mul_f16_sdwa v23, v25, v60 dst_sel:DWORD dst_unused:UNUSED_PAD src0_sel:WORD_1 src1_sel:DWORD
	ds_read2_b32 v[47:48], v1 offset0:160 offset1:216
	s_waitcnt lgkmcnt(1)
	v_lshrrev_b32_e32 v61, 16, v43
	v_fma_f16 v22, v24, v17, v22
	v_mul_f16_sdwa v17, v24, v17 dst_sel:DWORD dst_unused:UNUSED_PAD src0_sel:WORD_1 src1_sel:DWORD
	v_fma_f16 v23, v25, v12, v23
	v_mul_f16_sdwa v12, v25, v12 dst_sel:DWORD dst_unused:UNUSED_PAD src0_sel:WORD_1 src1_sel:DWORD
	v_lshrrev_b32_e32 v62, 16, v16
	v_fma_f16 v17, v24, v59, -v17
	v_fma_f16 v12, v25, v60, -v12
	v_mul_f16_sdwa v24, v26, v61 dst_sel:DWORD dst_unused:UNUSED_PAD src0_sel:WORD_1 src1_sel:DWORD
	v_mul_f16_sdwa v25, v26, v43 dst_sel:DWORD dst_unused:UNUSED_PAD src0_sel:WORD_1 src1_sel:DWORD
	v_add_u32_e32 v0, 0x1200, v77
	v_fma_f16 v24, v26, v43, v24
	v_fma_f16 v25, v26, v61, -v25
	v_mul_f16_sdwa v26, v27, v62 dst_sel:DWORD dst_unused:UNUSED_PAD src0_sel:WORD_1 src1_sel:DWORD
	v_lshrrev_b32_e32 v64, 16, v18
	ds_read2_b32 v[49:50], v0 offset0:80 offset1:136
	v_fma_f16 v26, v27, v16, v26
	v_mul_f16_sdwa v16, v27, v16 dst_sel:DWORD dst_unused:UNUSED_PAD src0_sel:WORD_1 src1_sel:DWORD
	ds_read2_b32 v[51:52], v5 offset0:192 offset1:248
	v_fma_f16 v16, v27, v62, -v16
	v_mul_f16_sdwa v27, v28, v64 dst_sel:DWORD dst_unused:UNUSED_PAD src0_sel:WORD_1 src1_sel:DWORD
	s_waitcnt lgkmcnt(2)
	v_lshrrev_b32_e32 v65, 16, v47
	v_fma_f16 v27, v28, v18, v27
	v_mul_f16_sdwa v18, v28, v18 dst_sel:DWORD dst_unused:UNUSED_PAD src0_sel:WORD_1 src1_sel:DWORD
	v_lshrrev_b32_e32 v66, 16, v44
	v_add_u32_e32 v53, 0xe00, v77
	v_fma_f16 v18, v28, v64, -v18
	v_mul_f16_sdwa v28, v29, v65 dst_sel:DWORD dst_unused:UNUSED_PAD src0_sel:WORD_1 src1_sel:DWORD
	v_mul_f16_sdwa v43, v29, v47 dst_sel:DWORD dst_unused:UNUSED_PAD src0_sel:WORD_1 src1_sel:DWORD
	ds_read2_b32 v[53:54], v53 offset0:112 offset1:168
	v_fma_f16 v28, v29, v47, v28
	v_fma_f16 v29, v29, v65, -v43
	v_mul_f16_sdwa v43, v30, v66 dst_sel:DWORD dst_unused:UNUSED_PAD src0_sel:WORD_1 src1_sel:DWORD
	s_waitcnt lgkmcnt(2)
	v_lshrrev_b32_e32 v67, 16, v49
	v_fma_f16 v43, v30, v44, v43
	v_mul_f16_sdwa v44, v30, v44 dst_sel:DWORD dst_unused:UNUSED_PAD src0_sel:WORD_1 src1_sel:DWORD
	s_waitcnt lgkmcnt(1)
	v_lshrrev_b32_e32 v69, 16, v51
	v_fma_f16 v30, v30, v66, -v44
	v_mul_f16_sdwa v44, v31, v67 dst_sel:DWORD dst_unused:UNUSED_PAD src0_sel:WORD_1 src1_sel:DWORD
	v_mul_f16_sdwa v47, v31, v49 dst_sel:DWORD dst_unused:UNUSED_PAD src0_sel:WORD_1 src1_sel:DWORD
	v_lshrrev_b32_e32 v70, 16, v48
	v_fma_f16 v44, v31, v49, v44
	v_fma_f16 v31, v31, v67, -v47
	v_mul_f16_sdwa v47, v36, v69 dst_sel:DWORD dst_unused:UNUSED_PAD src0_sel:WORD_1 src1_sel:DWORD
	v_mul_f16_sdwa v49, v36, v51 dst_sel:DWORD dst_unused:UNUSED_PAD src0_sel:WORD_1 src1_sel:DWORD
	v_fma_f16 v47, v36, v51, v47
	v_fma_f16 v36, v36, v69, -v49
	v_mul_f16_sdwa v49, v37, v70 dst_sel:DWORD dst_unused:UNUSED_PAD src0_sel:WORD_1 src1_sel:DWORD
	s_waitcnt lgkmcnt(0)
	v_lshrrev_b32_e32 v71, 16, v53
	v_fma_f16 v49, v37, v48, v49
	v_mul_f16_sdwa v48, v37, v48 dst_sel:DWORD dst_unused:UNUSED_PAD src0_sel:WORD_1 src1_sel:DWORD
	v_lshrrev_b32_e32 v72, 16, v50
	v_fma_f16 v37, v37, v70, -v48
	v_mul_f16_sdwa v48, v38, v71 dst_sel:DWORD dst_unused:UNUSED_PAD src0_sel:WORD_1 src1_sel:DWORD
	v_mul_f16_sdwa v51, v38, v53 dst_sel:DWORD dst_unused:UNUSED_PAD src0_sel:WORD_1 src1_sel:DWORD
	ds_read2_b32 v[2:3], v77 offset1:56
	v_fma_f16 v48, v38, v53, v48
	v_fma_f16 v38, v38, v71, -v51
	v_mul_f16_sdwa v51, v39, v72 dst_sel:DWORD dst_unused:UNUSED_PAD src0_sel:WORD_1 src1_sel:DWORD
	ds_read_b32 v73, v77 offset:5376
	v_lshrrev_b32_e32 v75, 16, v52
	v_fma_f16 v51, v39, v50, v51
	v_mul_f16_sdwa v50, v39, v50 dst_sel:DWORD dst_unused:UNUSED_PAD src0_sel:WORD_1 src1_sel:DWORD
	v_fma_f16 v39, v39, v72, -v50
	v_mul_f16_sdwa v50, v32, v75 dst_sel:DWORD dst_unused:UNUSED_PAD src0_sel:WORD_1 src1_sel:DWORD
	v_lshrrev_b32_e32 v76, 16, v13
	v_fma_f16 v50, v32, v52, v50
	v_mul_f16_sdwa v52, v32, v52 dst_sel:DWORD dst_unused:UNUSED_PAD src0_sel:WORD_1 src1_sel:DWORD
	v_fma_f16 v32, v32, v75, -v52
	v_mul_f16_sdwa v52, v33, v76 dst_sel:DWORD dst_unused:UNUSED_PAD src0_sel:WORD_1 src1_sel:DWORD
	v_add_f16_e32 v55, v19, v20
	v_lshrrev_b32_e32 v104, 16, v54
	v_fma_f16 v52, v33, v13, v52
	v_mul_f16_sdwa v13, v33, v13 dst_sel:DWORD dst_unused:UNUSED_PAD src0_sel:WORD_1 src1_sel:DWORD
	s_waitcnt lgkmcnt(1)
	v_fma_f16 v55, v55, -0.5, v2
	v_sub_f16_e32 v56, v7, v15
	s_mov_b32 s3, 0xbb9c
	s_movk_i32 s5, 0x3b9c
	s_waitcnt lgkmcnt(0)
	v_lshrrev_b32_e32 v105, 16, v73
	v_fma_f16 v13, v33, v76, -v13
	v_mul_f16_sdwa v33, v34, v104 dst_sel:DWORD dst_unused:UNUSED_PAD src0_sel:WORD_1 src1_sel:DWORD
	v_mul_f16_sdwa v53, v34, v54 dst_sel:DWORD dst_unused:UNUSED_PAD src0_sel:WORD_1 src1_sel:DWORD
	v_fma_f16 v57, v56, s3, v55
	v_sub_f16_e32 v59, v11, v14
	s_mov_b32 s2, 0xb8b4
	v_sub_f16_e32 v60, v106, v19
	v_sub_f16_e32 v61, v21, v20
	v_fma_f16 v55, v56, s5, v55
	s_movk_i32 s12, 0x38b4
	v_fma_f16 v33, v34, v54, v33
	v_fma_f16 v34, v34, v104, -v53
	v_mul_f16_sdwa v53, v35, v105 dst_sel:DWORD dst_unused:UNUSED_PAD src0_sel:WORD_1 src1_sel:DWORD
	v_mul_f16_sdwa v54, v35, v73 dst_sel:DWORD dst_unused:UNUSED_PAD src0_sel:WORD_1 src1_sel:DWORD
	v_fma_f16 v57, v59, s2, v57
	v_add_f16_e32 v60, v60, v61
	s_movk_i32 s4, 0x34f2
	v_fma_f16 v55, v59, s12, v55
	v_fma_f16 v53, v35, v73, v53
	v_fma_f16 v35, v35, v105, -v54
	v_add_f16_e32 v54, v2, v106
	v_fma_f16 v57, v60, s4, v57
	v_fma_f16 v55, v60, s4, v55
	v_add_f16_e32 v60, v106, v21
	v_lshrrev_b32_e32 v8, 16, v2
	v_add_f16_e32 v54, v54, v19
	v_fma_f16 v2, v60, -0.5, v2
	v_add_f16_e32 v54, v54, v20
	v_fma_f16 v60, v59, s5, v2
	v_sub_f16_e32 v61, v19, v106
	v_sub_f16_e32 v62, v20, v21
	v_fma_f16 v2, v59, s3, v2
	v_add_f16_e32 v59, v11, v14
	v_add_f16_e32 v54, v54, v21
	v_fma_f16 v60, v56, s2, v60
	v_add_f16_e32 v61, v61, v62
	v_fma_f16 v2, v56, s12, v2
	v_fma_f16 v59, v59, -0.5, v8
	v_sub_f16_e32 v21, v106, v21
	v_fma_f16 v60, v61, s4, v60
	v_fma_f16 v2, v61, s4, v2
	;; [unrolled: 1-line block ×3, first 2 shown]
	v_sub_f16_e32 v19, v19, v20
	v_fma_f16 v20, v19, s12, v61
	v_sub_f16_e32 v61, v7, v11
	v_sub_f16_e32 v62, v15, v14
	v_fma_f16 v59, v21, s3, v59
	v_add_f16_e32 v61, v61, v62
	v_fma_f16 v59, v19, s2, v59
	v_add_f16_e32 v56, v8, v7
	v_fma_f16 v20, v61, s4, v20
	v_fma_f16 v59, v61, s4, v59
	v_add_f16_e32 v61, v7, v15
	v_add_f16_e32 v56, v56, v11
	v_fma_f16 v8, v61, -0.5, v8
	v_add_f16_e32 v56, v56, v14
	v_fma_f16 v61, v19, s3, v8
	v_sub_f16_e32 v7, v11, v7
	v_sub_f16_e32 v11, v14, v15
	v_add_f16_e32 v14, v23, v24
	v_add_f16_e32 v56, v56, v15
	v_fma_f16 v61, v21, s12, v61
	v_add_f16_e32 v7, v7, v11
	v_fma_f16 v8, v19, s5, v8
	v_fma_f16 v14, v14, -0.5, v3
	v_sub_f16_e32 v15, v17, v16
	v_fma_f16 v11, v7, s4, v61
	v_fma_f16 v8, v21, s2, v8
	;; [unrolled: 1-line block ×3, first 2 shown]
	v_sub_f16_e32 v21, v12, v25
	v_sub_f16_e32 v61, v22, v23
	;; [unrolled: 1-line block ×3, first 2 shown]
	v_fma_f16 v14, v15, s5, v14
	v_fma_f16 v19, v21, s2, v19
	v_add_f16_e32 v61, v61, v62
	v_fma_f16 v14, v21, s12, v14
	v_fma_f16 v19, v61, s4, v19
	;; [unrolled: 1-line block ×3, first 2 shown]
	v_add_f16_e32 v61, v22, v26
	v_lshrrev_b32_e32 v58, 16, v3
	v_fma_f16 v7, v7, s4, v8
	v_add_f16_e32 v8, v3, v22
	v_fma_f16 v3, v61, -0.5, v3
	v_add_f16_e32 v8, v8, v23
	v_fma_f16 v61, v21, s5, v3
	v_fma_f16 v3, v21, s3, v3
	v_add_f16_e32 v21, v12, v25
	v_add_f16_e32 v8, v8, v24
	v_sub_f16_e32 v62, v23, v22
	v_sub_f16_e32 v64, v24, v26
	v_fma_f16 v21, v21, -0.5, v58
	v_sub_f16_e32 v22, v22, v26
	v_add_f16_e32 v8, v8, v26
	v_fma_f16 v61, v15, s2, v61
	v_add_f16_e32 v62, v62, v64
	v_fma_f16 v3, v15, s12, v3
	v_fma_f16 v26, v22, s5, v21
	v_sub_f16_e32 v23, v23, v24
	v_fma_f16 v61, v62, s4, v61
	v_fma_f16 v3, v62, s4, v3
	;; [unrolled: 1-line block ×3, first 2 shown]
	v_sub_f16_e32 v26, v17, v12
	v_sub_f16_e32 v62, v16, v25
	v_fma_f16 v21, v22, s3, v21
	ds_read2_b32 v[45:46], v77 offset0:112 offset1:168
	v_add_f16_e32 v26, v26, v62
	v_fma_f16 v21, v23, s2, v21
	v_add_f16_e32 v15, v58, v17
	v_fma_f16 v24, v26, s4, v24
	v_fma_f16 v21, v26, s4, v21
	v_add_f16_e32 v26, v17, v16
	v_add_f16_e32 v15, v15, v12
	v_fma_f16 v26, v26, -0.5, v58
	v_add_f16_e32 v15, v15, v25
	v_fma_f16 v58, v23, s3, v26
	v_sub_f16_e32 v12, v12, v17
	v_fma_f16 v17, v23, s5, v26
	v_add_f16_e32 v15, v15, v16
	v_fma_f16 v58, v22, s12, v58
	v_sub_f16_e32 v16, v25, v16
	v_fma_f16 v17, v22, s2, v17
	v_add_f16_e32 v22, v28, v43
	v_add_f16_e32 v12, v12, v16
	s_waitcnt lgkmcnt(0)
	v_fma_f16 v22, v22, -0.5, v45
	v_sub_f16_e32 v23, v18, v31
	v_fma_f16 v16, v12, s4, v58
	v_fma_f16 v25, v23, s3, v22
	v_sub_f16_e32 v26, v29, v30
	v_sub_f16_e32 v58, v27, v28
	v_sub_f16_e32 v62, v44, v43
	v_fma_f16 v22, v23, s5, v22
	v_fma_f16 v25, v26, s2, v25
	v_add_f16_e32 v58, v58, v62
	v_fma_f16 v22, v26, s12, v22
	v_fma_f16 v25, v58, s4, v25
	;; [unrolled: 1-line block ×3, first 2 shown]
	v_add_f16_e32 v58, v27, v44
	v_lshrrev_b32_e32 v63, 16, v45
	v_fma_f16 v12, v12, s4, v17
	v_add_f16_e32 v17, v45, v27
	v_fma_f16 v45, v58, -0.5, v45
	v_add_f16_e32 v17, v17, v28
	v_fma_f16 v58, v26, s5, v45
	v_fma_f16 v26, v26, s3, v45
	v_add_f16_e32 v45, v29, v30
	v_add_f16_e32 v17, v17, v43
	v_sub_f16_e32 v62, v28, v27
	v_sub_f16_e32 v64, v43, v44
	v_fma_f16 v45, v45, -0.5, v63
	v_sub_f16_e32 v27, v27, v44
	v_add_f16_e32 v17, v17, v44
	v_fma_f16 v58, v23, s2, v58
	v_add_f16_e32 v62, v62, v64
	v_fma_f16 v23, v23, s12, v26
	v_fma_f16 v44, v27, s5, v45
	v_sub_f16_e32 v28, v28, v43
	v_fma_f16 v58, v62, s4, v58
	v_fma_f16 v23, v62, s4, v23
	;; [unrolled: 1-line block ×3, first 2 shown]
	v_sub_f16_e32 v44, v18, v29
	v_sub_f16_e32 v62, v31, v30
	v_fma_f16 v45, v27, s3, v45
	v_add_f16_e32 v44, v44, v62
	v_fma_f16 v45, v28, s2, v45
	v_fma_f16 v43, v44, s4, v43
	v_fma_f16 v44, v44, s4, v45
	v_add_f16_e32 v45, v18, v31
	v_fma_f16 v45, v45, -0.5, v63
	v_add_f16_e32 v26, v63, v18
	v_fma_f16 v62, v28, s3, v45
	v_fma_f16 v28, v28, s5, v45
	v_add_f16_e32 v26, v26, v29
	v_fma_f16 v62, v27, s12, v62
	v_sub_f16_e32 v18, v29, v18
	v_sub_f16_e32 v29, v30, v31
	v_fma_f16 v27, v27, s2, v28
	v_add_f16_e32 v28, v49, v48
	v_add_f16_e32 v26, v26, v30
	;; [unrolled: 1-line block ×3, first 2 shown]
	v_fma_f16 v28, v28, -0.5, v46
	v_sub_f16_e32 v30, v36, v39
	v_add_f16_e32 v26, v26, v31
	v_fma_f16 v29, v18, s4, v62
	v_fma_f16 v31, v30, s3, v28
	v_sub_f16_e32 v45, v37, v38
	v_sub_f16_e32 v62, v47, v49
	;; [unrolled: 1-line block ×3, first 2 shown]
	v_fma_f16 v28, v30, s5, v28
	v_fma_f16 v31, v45, s2, v31
	v_add_f16_e32 v62, v62, v63
	v_fma_f16 v28, v45, s12, v28
	v_fma_f16 v31, v62, s4, v31
	;; [unrolled: 1-line block ×3, first 2 shown]
	v_add_f16_e32 v62, v47, v51
	v_lshrrev_b32_e32 v68, 16, v46
	v_fma_f16 v18, v18, s4, v27
	v_add_f16_e32 v27, v46, v47
	v_fma_f16 v46, v62, -0.5, v46
	v_add_f16_e32 v27, v27, v49
	v_fma_f16 v62, v45, s5, v46
	v_fma_f16 v45, v45, s3, v46
	v_add_f16_e32 v46, v37, v38
	v_add_f16_e32 v27, v27, v48
	v_sub_f16_e32 v63, v49, v47
	v_sub_f16_e32 v64, v48, v51
	v_fma_f16 v46, v46, -0.5, v68
	v_sub_f16_e32 v47, v47, v51
	v_add_f16_e32 v27, v27, v51
	v_fma_f16 v62, v30, s2, v62
	v_add_f16_e32 v63, v63, v64
	v_fma_f16 v30, v30, s12, v45
	v_fma_f16 v51, v47, s5, v46
	v_sub_f16_e32 v48, v49, v48
	v_fma_f16 v62, v63, s4, v62
	v_fma_f16 v30, v63, s4, v30
	;; [unrolled: 1-line block ×3, first 2 shown]
	v_sub_f16_e32 v51, v36, v37
	v_sub_f16_e32 v63, v39, v38
	v_fma_f16 v46, v47, s3, v46
	v_add_f16_e32 v45, v68, v36
	v_add_f16_e32 v51, v51, v63
	v_fma_f16 v46, v48, s2, v46
	v_add_f16_e32 v45, v45, v37
	v_fma_f16 v49, v51, s4, v49
	v_fma_f16 v46, v51, s4, v46
	v_add_f16_e32 v51, v36, v39
	v_add_f16_e32 v45, v45, v38
	v_fma_f16 v51, v51, -0.5, v68
	v_add_f16_e32 v45, v45, v39
	v_fma_f16 v63, v48, s3, v51
	v_sub_f16_e32 v36, v37, v36
	v_sub_f16_e32 v37, v38, v39
	v_fma_f16 v38, v48, s5, v51
	v_add_f16_e32 v39, v52, v33
	v_fma_f16 v63, v47, s12, v63
	v_add_f16_e32 v36, v36, v37
	v_fma_f16 v38, v47, s2, v38
	v_fma_f16 v39, v39, -0.5, v6
	v_sub_f16_e32 v47, v32, v35
	v_fma_f16 v37, v36, s4, v63
	v_fma_f16 v48, v47, s3, v39
	v_sub_f16_e32 v51, v13, v34
	v_sub_f16_e32 v63, v50, v52
	;; [unrolled: 1-line block ×3, first 2 shown]
	v_fma_f16 v39, v47, s5, v39
	v_fma_f16 v48, v51, s2, v48
	v_add_f16_e32 v63, v63, v64
	v_fma_f16 v39, v51, s12, v39
	v_fma_f16 v48, v63, s4, v48
	;; [unrolled: 1-line block ×3, first 2 shown]
	v_add_f16_e32 v63, v50, v53
	v_lshrrev_b32_e32 v74, 16, v6
	v_fma_f16 v36, v36, s4, v38
	v_add_f16_e32 v38, v6, v50
	v_fma_f16 v6, v63, -0.5, v6
	v_add_f16_e32 v38, v38, v52
	v_fma_f16 v63, v51, s5, v6
	v_fma_f16 v6, v51, s3, v6
	v_add_f16_e32 v51, v13, v34
	v_add_f16_e32 v38, v38, v33
	v_sub_f16_e32 v64, v52, v50
	v_sub_f16_e32 v65, v33, v53
	v_fma_f16 v51, v51, -0.5, v74
	v_sub_f16_e32 v50, v50, v53
	v_add_f16_e32 v38, v38, v53
	v_fma_f16 v63, v47, s2, v63
	v_add_f16_e32 v64, v64, v65
	v_fma_f16 v6, v47, s12, v6
	v_fma_f16 v53, v50, s5, v51
	v_sub_f16_e32 v33, v52, v33
	v_fma_f16 v63, v64, s4, v63
	v_fma_f16 v6, v64, s4, v6
	;; [unrolled: 1-line block ×3, first 2 shown]
	v_sub_f16_e32 v53, v32, v13
	v_sub_f16_e32 v64, v35, v34
	v_fma_f16 v51, v50, s3, v51
	v_add_f16_e32 v53, v53, v64
	v_fma_f16 v51, v33, s2, v51
	v_fma_f16 v52, v53, s4, v52
	;; [unrolled: 1-line block ×3, first 2 shown]
	v_add_f16_e32 v53, v32, v35
	v_add_f16_e32 v47, v74, v32
	v_fma_f16 v53, v53, -0.5, v74
	v_add_f16_e32 v47, v47, v13
	v_fma_f16 v64, v33, s3, v53
	v_sub_f16_e32 v13, v13, v32
	v_sub_f16_e32 v32, v34, v35
	v_fma_f16 v33, v33, s5, v53
	v_pack_b32_f16 v2, v2, v7
	v_fma_f16 v64, v50, s12, v64
	v_add_f16_e32 v13, v13, v32
	v_fma_f16 v33, v50, s2, v33
	ds_write_b32 v77, v2 offset:3360
	v_pack_b32_f16 v2, v55, v59
	v_fma_f16 v32, v13, s4, v64
	v_fma_f16 v13, v13, s4, v33
	v_pack_b32_f16 v33, v54, v56
	v_pack_b32_f16 v20, v57, v20
	v_pack_b32_f16 v11, v60, v11
	ds_write_b32 v77, v2 offset:4480
	v_pack_b32_f16 v2, v8, v15
	ds_write_b32 v77, v20 offset:1120
	ds_write_b32 v77, v11 offset:2240
	ds_write2_b32 v77, v33, v2 offset1:56
	v_pack_b32_f16 v2, v19, v24
	v_pack_b32_f16 v3, v3, v12
	;; [unrolled: 1-line block ×4, first 2 shown]
	ds_write2_b32 v5, v2, v12 offset0:80 offset1:136
	v_pack_b32_f16 v2, v58, v29
	ds_write2_b32 v1, v7, v2 offset0:104 offset1:160
	v_pack_b32_f16 v2, v23, v18
	v_pack_b32_f16 v8, v14, v21
	ds_write2_b32 v9, v3, v2 offset0:128 offset1:184
	v_pack_b32_f16 v2, v22, v44
	v_pack_b32_f16 v11, v17, v26
	ds_write2_b32 v4, v8, v2 offset0:152 offset1:208
	v_pack_b32_f16 v2, v27, v45
	v_pack_b32_f16 v3, v62, v37
	v_add_f16_e32 v47, v47, v34
	ds_write2_b32 v77, v11, v2 offset0:112 offset1:168
	ds_write_b32 v77, v3 offset:2912
	v_pack_b32_f16 v3, v30, v36
	v_add_f16_e32 v47, v47, v35
	ds_write_b32 v77, v3 offset:4032
	v_pack_b32_f16 v3, v28, v46
	ds_write_b32 v77, v3 offset:5152
	v_pack_b32_f16 v3, v38, v47
	v_pack_b32_f16 v2, v31, v49
	ds_write_b32 v77, v3 offset:896
	v_pack_b32_f16 v3, v48, v52
	ds_write2_b32 v5, v2, v3 offset0:192 offset1:248
	v_pack_b32_f16 v2, v63, v32
	ds_write_b32 v77, v2 offset:3136
	v_pack_b32_f16 v2, v6, v13
	ds_write_b32 v77, v2 offset:4256
	v_pack_b32_f16 v2, v39, v51
	ds_write_b32 v77, v2 offset:5376
	s_waitcnt lgkmcnt(0)
	; wave barrier
	s_waitcnt lgkmcnt(0)
	ds_read2_b32 v[11:12], v77 offset1:56
	s_mov_b32 s12, 0xe434a9b1
	s_mov_b32 s13, 0x3f4767dc
	v_mad_u64_u32 v[6:7], s[2:3], s10, v42, 0
	s_waitcnt lgkmcnt(0)
	v_lshrrev_b32_e32 v13, 16, v11
	v_mul_f16_sdwa v2, v103, v13 dst_sel:DWORD dst_unused:UNUSED_PAD src0_sel:WORD_1 src1_sel:DWORD
	v_fma_f16 v2, v103, v11, v2
	v_cvt_f32_f16_e32 v2, v2
	s_movk_i32 s15, 0x1ff
	v_mad_u64_u32 v[7:8], s[2:3], s11, v42, v[7:8]
	v_cvt_f64_f32_e32 v[2:3], v2
	s_movk_i32 s10, 0xffe
	v_mul_f16_sdwa v11, v103, v11 dst_sel:DWORD dst_unused:UNUSED_PAD src0_sel:WORD_1 src1_sel:DWORD
	v_fma_f16 v11, v103, v13, -v11
	v_mul_f64 v[2:3], v[2:3], s[12:13]
	v_cvt_f32_f16_e32 v11, v11
	s_movk_i32 s11, 0x40f
	s_mov_b32 s14, 0x8000
	ds_read2_b32 v[17:18], v1 offset0:188 offset1:244
	s_movk_i32 s16, 0x1000
	v_and_or_b32 v2, v3, s15, v2
	v_cmp_ne_u32_e32 vcc, 0, v2
	v_cndmask_b32_e64 v2, 0, 1, vcc
	v_lshrrev_b32_e32 v8, 8, v3
	v_bfe_u32 v14, v3, 20, 11
	v_and_or_b32 v8, v8, s10, v2
	v_sub_u32_e32 v15, 0x3f1, v14
	v_or_b32_e32 v2, 0x1000, v8
	v_med3_i32 v15, v15, 0, 13
	v_lshrrev_b32_e32 v16, v15, v2
	v_lshlrev_b32_e32 v15, v15, v16
	v_cmp_ne_u32_e32 vcc, v15, v2
	v_cndmask_b32_e64 v2, 0, 1, vcc
	v_add_u32_e32 v15, 0xfffffc10, v14
	v_or_b32_e32 v2, v16, v2
	v_lshl_or_b32 v14, v15, 12, v8
	v_cmp_gt_i32_e32 vcc, 1, v15
	v_cndmask_b32_e32 v2, v14, v2, vcc
	v_and_b32_e32 v14, 7, v2
	v_cmp_lt_i32_e32 vcc, 5, v14
	v_cmp_eq_u32_e64 s[2:3], 3, v14
	v_cvt_f64_f32_e32 v[13:14], v11
	v_lshrrev_b32_e32 v2, 2, v2
	s_or_b64 vcc, s[2:3], vcc
	v_addc_co_u32_e32 v16, vcc, 0, v2, vcc
	v_mul_f64 v[13:14], v[13:14], s[12:13]
	v_mov_b32_e32 v2, 0x7c00
	v_cmp_gt_i32_e32 vcc, 31, v15
	v_cndmask_b32_e32 v11, v2, v16, vcc
	v_cmp_ne_u32_e32 vcc, 0, v8
	v_cndmask_b32_e64 v8, 0, 1, vcc
	v_lshl_or_b32 v8, v8, 9, v2
	v_cmp_eq_u32_e32 vcc, s11, v15
	v_cndmask_b32_e32 v8, v11, v8, vcc
	v_lshrrev_b32_e32 v3, 16, v3
	v_and_or_b32 v8, v3, s14, v8
	v_and_or_b32 v3, v14, s15, v13
	v_cmp_ne_u32_e32 vcc, 0, v3
	v_cndmask_b32_e64 v3, 0, 1, vcc
	v_lshrrev_b32_e32 v11, 8, v14
	v_bfe_u32 v13, v14, 20, 11
	v_and_or_b32 v3, v11, s10, v3
	v_sub_u32_e32 v15, 0x3f1, v13
	v_or_b32_e32 v11, 0x1000, v3
	v_med3_i32 v15, v15, 0, 13
	v_lshrrev_b32_e32 v16, v15, v11
	v_lshlrev_b32_e32 v15, v15, v16
	v_cmp_ne_u32_e32 vcc, v15, v11
	v_cndmask_b32_e64 v11, 0, 1, vcc
	v_add_u32_e32 v13, 0xfffffc10, v13
	v_or_b32_e32 v11, v16, v11
	v_lshl_or_b32 v15, v13, 12, v3
	v_cmp_gt_i32_e32 vcc, 1, v13
	v_cndmask_b32_e32 v11, v15, v11, vcc
	v_and_b32_e32 v15, 7, v11
	v_cmp_lt_i32_e32 vcc, 5, v15
	v_cmp_eq_u32_e64 s[2:3], 3, v15
	v_lshrrev_b32_e32 v11, 2, v11
	s_or_b64 vcc, s[2:3], vcc
	v_addc_co_u32_e32 v11, vcc, 0, v11, vcc
	v_cmp_gt_i32_e32 vcc, 31, v13
	v_mad_u64_u32 v[15:16], s[2:3], s8, v101, 0
	v_cndmask_b32_e32 v11, v2, v11, vcc
	v_cmp_ne_u32_e32 vcc, 0, v3
	v_cndmask_b32_e64 v3, 0, 1, vcc
	v_lshl_or_b32 v3, v3, 9, v2
	v_cmp_eq_u32_e32 vcc, s11, v13
	v_cndmask_b32_e32 v11, v11, v3, vcc
	v_mov_b32_e32 v3, v16
	v_lshrrev_b32_e32 v19, 16, v14
	v_mad_u64_u32 v[13:14], s[2:3], s9, v101, v[3:4]
	s_waitcnt lgkmcnt(0)
	v_lshrrev_b32_e32 v3, 16, v17
	v_mul_f16_sdwa v14, v102, v3 dst_sel:DWORD dst_unused:UNUSED_PAD src0_sel:WORD_1 src1_sel:DWORD
	v_fma_f16 v14, v102, v17, v14
	v_cvt_f32_f16_e32 v14, v14
	v_mov_b32_e32 v16, v13
	v_and_or_b32 v11, v19, s14, v11
	v_and_b32_e32 v8, 0xffff, v8
	v_cvt_f64_f32_e32 v[13:14], v14
	v_lshl_or_b32 v11, v11, 16, v8
	v_lshlrev_b64 v[7:8], 2, v[6:7]
	v_mov_b32_e32 v6, s7
	v_mul_f64 v[13:14], v[13:14], s[12:13]
	v_add_co_u32_e32 v7, vcc, s6, v7
	v_lshlrev_b64 v[15:16], 2, v[15:16]
	v_addc_co_u32_e32 v8, vcc, v6, v8, vcc
	v_add_co_u32_e32 v15, vcc, v7, v15
	v_addc_co_u32_e32 v16, vcc, v8, v16, vcc
	v_and_or_b32 v6, v14, s15, v13
	v_cmp_ne_u32_e32 vcc, 0, v6
	global_store_dword v[15:16], v11, off
	v_cndmask_b32_e64 v6, 0, 1, vcc
	v_lshrrev_b32_e32 v11, 8, v14
	v_bfe_u32 v13, v14, 20, 11
	v_and_or_b32 v6, v11, s10, v6
	v_sub_u32_e32 v19, 0x3f1, v13
	v_or_b32_e32 v11, 0x1000, v6
	v_med3_i32 v19, v19, 0, 13
	v_lshrrev_b32_e32 v20, v19, v11
	v_lshlrev_b32_e32 v19, v19, v20
	v_mul_f16_sdwa v17, v102, v17 dst_sel:DWORD dst_unused:UNUSED_PAD src0_sel:WORD_1 src1_sel:DWORD
	v_cmp_ne_u32_e32 vcc, v19, v11
	v_fma_f16 v3, v102, v3, -v17
	v_cndmask_b32_e64 v11, 0, 1, vcc
	v_add_u32_e32 v13, 0xfffffc10, v13
	v_cvt_f32_f16_e32 v3, v3
	v_or_b32_e32 v11, v20, v11
	v_lshl_or_b32 v19, v13, 12, v6
	v_cmp_gt_i32_e32 vcc, 1, v13
	v_cndmask_b32_e32 v11, v19, v11, vcc
	v_and_b32_e32 v19, 7, v11
	v_cmp_lt_i32_e32 vcc, 5, v19
	v_cmp_eq_u32_e64 s[2:3], 3, v19
	v_cvt_f64_f32_e32 v[19:20], v3
	v_lshrrev_b32_e32 v11, 2, v11
	s_or_b64 vcc, s[2:3], vcc
	v_addc_co_u32_e32 v3, vcc, 0, v11, vcc
	v_mul_f64 v[19:20], v[19:20], s[12:13]
	v_cmp_gt_i32_e32 vcc, 31, v13
	v_cndmask_b32_e32 v3, v2, v3, vcc
	v_cmp_ne_u32_e32 vcc, 0, v6
	v_cndmask_b32_e64 v6, 0, 1, vcc
	v_lshl_or_b32 v6, v6, 9, v2
	v_cmp_eq_u32_e32 vcc, s11, v13
	v_cndmask_b32_e32 v3, v3, v6, vcc
	v_lshrrev_b32_e32 v6, 16, v14
	v_and_or_b32 v3, v6, s14, v3
	v_and_or_b32 v6, v20, s15, v19
	v_cmp_ne_u32_e32 vcc, 0, v6
	v_cndmask_b32_e64 v6, 0, 1, vcc
	v_lshrrev_b32_e32 v11, 8, v20
	v_bfe_u32 v13, v20, 20, 11
	v_and_or_b32 v6, v11, s10, v6
	v_sub_u32_e32 v14, 0x3f1, v13
	v_or_b32_e32 v11, 0x1000, v6
	v_med3_i32 v14, v14, 0, 13
	v_lshrrev_b32_e32 v17, v14, v11
	v_lshlrev_b32_e32 v14, v14, v17
	v_cmp_ne_u32_e32 vcc, v14, v11
	v_cndmask_b32_e64 v11, 0, 1, vcc
	v_add_u32_e32 v13, 0xfffffc10, v13
	v_or_b32_e32 v11, v17, v11
	v_lshl_or_b32 v14, v13, 12, v6
	v_cmp_gt_i32_e32 vcc, 1, v13
	v_cndmask_b32_e32 v11, v14, v11, vcc
	v_and_b32_e32 v14, 7, v11
	v_cmp_lt_i32_e32 vcc, 5, v14
	v_cmp_eq_u32_e64 s[2:3], 3, v14
	v_lshrrev_b32_e32 v11, 2, v11
	s_or_b64 vcc, s[2:3], vcc
	v_addc_co_u32_e32 v11, vcc, 0, v11, vcc
	v_cmp_gt_i32_e32 vcc, 31, v13
	v_cndmask_b32_e32 v11, v2, v11, vcc
	v_cmp_ne_u32_e32 vcc, 0, v6
	v_cndmask_b32_e64 v6, 0, 1, vcc
	v_lshl_or_b32 v6, v6, 9, v2
	v_cmp_eq_u32_e32 vcc, s11, v13
	v_cndmask_b32_e32 v6, v11, v6, vcc
	v_lshrrev_b32_e32 v11, 16, v20
	v_and_or_b32 v6, v11, s14, v6
	v_lshrrev_b32_e32 v11, 16, v12
	v_mul_f16_sdwa v13, v100, v11 dst_sel:DWORD dst_unused:UNUSED_PAD src0_sel:WORD_1 src1_sel:DWORD
	v_fma_f16 v13, v100, v12, v13
	v_cvt_f32_f16_e32 v13, v13
	s_mul_i32 s2, s9, 0x2bc
	s_mul_hi_u32 s3, s8, 0x2bc
	s_add_i32 s3, s3, s2
	v_cvt_f64_f32_e32 v[13:14], v13
	s_mul_i32 s2, s8, 0x2bc
	v_and_b32_e32 v3, 0xffff, v3
	s_lshl_b64 s[6:7], s[2:3], 2
	v_mul_f64 v[13:14], v[13:14], s[12:13]
	v_lshl_or_b32 v6, v6, 16, v3
	v_mov_b32_e32 v3, s7
	v_add_co_u32_e32 v15, vcc, s6, v15
	v_addc_co_u32_e32 v16, vcc, v16, v3, vcc
	global_store_dword v[15:16], v6, off
	v_and_or_b32 v6, v14, s15, v13
	v_mul_f16_sdwa v12, v100, v12 dst_sel:DWORD dst_unused:UNUSED_PAD src0_sel:WORD_1 src1_sel:DWORD
	v_cmp_ne_u32_e32 vcc, 0, v6
	v_fma_f16 v11, v100, v11, -v12
	v_cndmask_b32_e64 v6, 0, 1, vcc
	v_lshrrev_b32_e32 v13, 8, v14
	v_bfe_u32 v17, v14, 20, 11
	v_cvt_f32_f16_e32 v11, v11
	v_and_or_b32 v6, v13, s10, v6
	v_sub_u32_e32 v19, 0x3f1, v17
	v_or_b32_e32 v13, 0x1000, v6
	v_med3_i32 v19, v19, 0, 13
	v_lshrrev_b32_e32 v20, v19, v13
	v_lshlrev_b32_e32 v19, v19, v20
	v_cvt_f64_f32_e32 v[11:12], v11
	v_cmp_ne_u32_e32 vcc, v19, v13
	v_cndmask_b32_e64 v13, 0, 1, vcc
	v_add_u32_e32 v17, 0xfffffc10, v17
	v_or_b32_e32 v13, v20, v13
	v_lshl_or_b32 v19, v17, 12, v6
	v_cmp_gt_i32_e32 vcc, 1, v17
	v_cndmask_b32_e32 v13, v19, v13, vcc
	v_mul_f64 v[11:12], v[11:12], s[12:13]
	v_and_b32_e32 v19, 7, v13
	v_cmp_lt_i32_e32 vcc, 5, v19
	v_cmp_eq_u32_e64 s[2:3], 3, v19
	v_lshrrev_b32_e32 v13, 2, v13
	s_or_b64 vcc, s[2:3], vcc
	v_addc_co_u32_e32 v13, vcc, 0, v13, vcc
	v_cmp_gt_i32_e32 vcc, 31, v17
	v_cndmask_b32_e32 v13, v2, v13, vcc
	v_cmp_ne_u32_e32 vcc, 0, v6
	v_cndmask_b32_e64 v6, 0, 1, vcc
	v_lshl_or_b32 v6, v6, 9, v2
	v_cmp_eq_u32_e32 vcc, s11, v17
	v_and_or_b32 v11, v12, s15, v11
	v_cndmask_b32_e32 v6, v13, v6, vcc
	v_lshrrev_b32_e32 v13, 16, v14
	v_cmp_ne_u32_e32 vcc, 0, v11
	v_and_or_b32 v6, v13, s14, v6
	v_cndmask_b32_e64 v11, 0, 1, vcc
	v_lshrrev_b32_e32 v13, 8, v12
	v_bfe_u32 v14, v12, 20, 11
	v_and_or_b32 v11, v13, s10, v11
	v_sub_u32_e32 v17, 0x3f1, v14
	v_or_b32_e32 v13, 0x1000, v11
	v_med3_i32 v17, v17, 0, 13
	v_lshrrev_b32_e32 v19, v17, v13
	v_lshlrev_b32_e32 v17, v17, v19
	v_cmp_ne_u32_e32 vcc, v17, v13
	v_cndmask_b32_e64 v13, 0, 1, vcc
	v_add_u32_e32 v14, 0xfffffc10, v14
	v_or_b32_e32 v13, v19, v13
	v_lshl_or_b32 v17, v14, 12, v11
	v_cmp_gt_i32_e32 vcc, 1, v14
	v_cndmask_b32_e32 v13, v17, v13, vcc
	v_and_b32_e32 v17, 7, v13
	v_cmp_lt_i32_e32 vcc, 5, v17
	v_cmp_eq_u32_e64 s[2:3], 3, v17
	v_lshrrev_b32_e32 v13, 2, v13
	s_or_b64 vcc, s[2:3], vcc
	v_addc_co_u32_e32 v13, vcc, 0, v13, vcc
	v_cmp_gt_i32_e32 vcc, 31, v14
	v_cndmask_b32_e32 v13, v2, v13, vcc
	v_cmp_ne_u32_e32 vcc, 0, v11
	v_cndmask_b32_e64 v11, 0, 1, vcc
	v_lshl_or_b32 v11, v11, 9, v2
	v_cmp_eq_u32_e32 vcc, s11, v14
	v_cndmask_b32_e32 v11, v13, v11, vcc
	v_lshrrev_b32_e32 v12, 16, v12
	v_lshrrev_b32_e32 v17, 16, v18
	v_and_or_b32 v13, v12, s14, v11
	v_mul_f16_sdwa v11, v99, v17 dst_sel:DWORD dst_unused:UNUSED_PAD src0_sel:WORD_1 src1_sel:DWORD
	v_fma_f16 v11, v99, v18, v11
	v_cvt_f32_f16_e32 v11, v11
	s_mul_hi_u32 s3, s8, 0xfffffd7c
	s_mul_i32 s2, s9, 0xfffffd7c
	s_sub_i32 s3, s3, s8
	v_cvt_f64_f32_e32 v[11:12], v11
	s_add_i32 s3, s3, s2
	s_mul_i32 s2, s8, 0xfffffd7c
	v_and_b32_e32 v6, 0xffff, v6
	v_mul_f64 v[11:12], v[11:12], s[12:13]
	s_lshl_b64 s[4:5], s[2:3], 2
	v_lshl_or_b32 v19, v13, 16, v6
	v_mov_b32_e32 v6, s5
	v_add_co_u32_e32 v13, vcc, s4, v15
	v_addc_co_u32_e32 v14, vcc, v16, v6, vcc
	v_and_or_b32 v11, v12, s15, v11
	v_cmp_ne_u32_e32 vcc, 0, v11
	v_cndmask_b32_e64 v11, 0, 1, vcc
	v_lshrrev_b32_e32 v15, 8, v12
	v_bfe_u32 v16, v12, 20, 11
	global_store_dword v[13:14], v19, off
	v_and_or_b32 v11, v15, s10, v11
	v_sub_u32_e32 v19, 0x3f1, v16
	v_or_b32_e32 v15, 0x1000, v11
	v_med3_i32 v19, v19, 0, 13
	v_lshrrev_b32_e32 v20, v19, v15
	v_lshlrev_b32_e32 v19, v19, v20
	v_mul_f16_sdwa v18, v99, v18 dst_sel:DWORD dst_unused:UNUSED_PAD src0_sel:WORD_1 src1_sel:DWORD
	v_cmp_ne_u32_e32 vcc, v19, v15
	v_fma_f16 v17, v99, v17, -v18
	v_cndmask_b32_e64 v15, 0, 1, vcc
	v_add_u32_e32 v19, 0xfffffc10, v16
	v_cvt_f32_f16_e32 v17, v17
	v_or_b32_e32 v15, v20, v15
	v_lshl_or_b32 v16, v19, 12, v11
	v_cmp_gt_i32_e32 vcc, 1, v19
	v_cndmask_b32_e32 v15, v16, v15, vcc
	v_and_b32_e32 v16, 7, v15
	v_cmp_lt_i32_e32 vcc, 5, v16
	v_cmp_eq_u32_e64 s[2:3], 3, v16
	v_lshrrev_b32_e32 v18, 2, v15
	v_cvt_f64_f32_e32 v[15:16], v17
	s_or_b64 vcc, s[2:3], vcc
	v_addc_co_u32_e32 v17, vcc, 0, v18, vcc
	v_mul_f64 v[15:16], v[15:16], s[12:13]
	v_cmp_gt_i32_e32 vcc, 31, v19
	v_cndmask_b32_e32 v17, v2, v17, vcc
	v_cmp_ne_u32_e32 vcc, 0, v11
	v_cndmask_b32_e64 v11, 0, 1, vcc
	v_lshl_or_b32 v11, v11, 9, v2
	v_cmp_eq_u32_e32 vcc, s11, v19
	v_cndmask_b32_e32 v11, v17, v11, vcc
	v_lshrrev_b32_e32 v12, 16, v12
	v_and_or_b32 v19, v12, s14, v11
	v_and_or_b32 v11, v16, s15, v15
	v_cmp_ne_u32_e32 vcc, 0, v11
	v_cndmask_b32_e64 v11, 0, 1, vcc
	v_lshrrev_b32_e32 v12, 8, v16
	v_and_or_b32 v15, v12, s10, v11
	v_bfe_u32 v12, v16, 20, 11
	v_sub_u32_e32 v17, 0x3f1, v12
	v_or_b32_e32 v11, 0x1000, v15
	v_med3_i32 v17, v17, 0, 13
	v_lshrrev_b32_e32 v18, v17, v11
	v_lshlrev_b32_e32 v17, v17, v18
	v_cmp_ne_u32_e32 vcc, v17, v11
	v_cndmask_b32_e64 v11, 0, 1, vcc
	v_add_u32_e32 v20, 0xfffffc10, v12
	v_or_b32_e32 v11, v18, v11
	v_lshl_or_b32 v12, v20, 12, v15
	v_cmp_gt_i32_e32 vcc, 1, v20
	v_cndmask_b32_e32 v11, v12, v11, vcc
	v_and_b32_e32 v12, 7, v11
	v_cmp_lt_i32_e32 vcc, 5, v12
	v_cmp_eq_u32_e64 s[2:3], 3, v12
	v_lshrrev_b32_e32 v17, 2, v11
	ds_read2_b32 v[11:12], v77 offset0:112 offset1:168
	s_or_b64 vcc, s[2:3], vcc
	v_addc_co_u32_e32 v17, vcc, 0, v17, vcc
	v_cmp_gt_i32_e32 vcc, 31, v20
	s_waitcnt lgkmcnt(0)
	v_lshrrev_b32_e32 v22, 16, v11
	v_cndmask_b32_e32 v21, v2, v17, vcc
	v_mul_f16_sdwa v17, v98, v22 dst_sel:DWORD dst_unused:UNUSED_PAD src0_sel:WORD_1 src1_sel:DWORD
	v_fma_f16 v17, v98, v11, v17
	v_cvt_f32_f16_e32 v17, v17
	v_cmp_ne_u32_e32 vcc, 0, v15
	v_cndmask_b32_e64 v15, 0, 1, vcc
	v_lshl_or_b32 v15, v15, 9, v2
	v_cvt_f64_f32_e32 v[17:18], v17
	v_cmp_eq_u32_e32 vcc, s11, v20
	v_cndmask_b32_e32 v15, v21, v15, vcc
	v_lshrrev_b32_e32 v16, 16, v16
	v_and_or_b32 v20, v16, s14, v15
	v_mul_f64 v[15:16], v[17:18], s[12:13]
	v_add_co_u32_e32 v13, vcc, s6, v13
	v_and_b32_e32 v17, 0xffff, v19
	v_addc_co_u32_e32 v14, vcc, v14, v3, vcc
	v_lshl_or_b32 v17, v20, 16, v17
	global_store_dword v[13:14], v17, off
	v_and_or_b32 v15, v16, s15, v15
	v_cmp_ne_u32_e32 vcc, 0, v15
	v_cndmask_b32_e64 v15, 0, 1, vcc
	v_lshrrev_b32_e32 v17, 8, v16
	v_bfe_u32 v18, v16, 20, 11
	v_and_or_b32 v15, v17, s10, v15
	v_sub_u32_e32 v19, 0x3f1, v18
	v_or_b32_e32 v17, 0x1000, v15
	v_med3_i32 v19, v19, 0, 13
	v_lshrrev_b32_e32 v20, v19, v17
	v_lshlrev_b32_e32 v19, v19, v20
	v_mul_f16_sdwa v11, v98, v11 dst_sel:DWORD dst_unused:UNUSED_PAD src0_sel:WORD_1 src1_sel:DWORD
	v_cmp_ne_u32_e32 vcc, v19, v17
	v_fma_f16 v11, v98, v22, -v11
	v_cndmask_b32_e64 v17, 0, 1, vcc
	v_add_u32_e32 v19, 0xfffffc10, v18
	v_cvt_f32_f16_e32 v11, v11
	v_or_b32_e32 v17, v20, v17
	v_lshl_or_b32 v18, v19, 12, v15
	v_cmp_gt_i32_e32 vcc, 1, v19
	v_cndmask_b32_e32 v17, v18, v17, vcc
	v_and_b32_e32 v18, 7, v17
	v_cmp_lt_i32_e32 vcc, 5, v18
	v_cmp_eq_u32_e64 s[2:3], 3, v18
	v_lshrrev_b32_e32 v20, 2, v17
	v_cvt_f64_f32_e32 v[17:18], v11
	s_or_b64 vcc, s[2:3], vcc
	v_addc_co_u32_e32 v11, vcc, 0, v20, vcc
	v_mul_f64 v[17:18], v[17:18], s[12:13]
	v_cmp_gt_i32_e32 vcc, 31, v19
	v_cndmask_b32_e32 v11, v2, v11, vcc
	v_cmp_ne_u32_e32 vcc, 0, v15
	v_cndmask_b32_e64 v15, 0, 1, vcc
	v_lshl_or_b32 v15, v15, 9, v2
	v_cmp_eq_u32_e32 vcc, s11, v19
	v_cndmask_b32_e32 v11, v11, v15, vcc
	v_lshrrev_b32_e32 v15, 16, v16
	v_and_or_b32 v11, v15, s14, v11
	v_and_or_b32 v15, v18, s15, v17
	v_cmp_ne_u32_e32 vcc, 0, v15
	v_cndmask_b32_e64 v15, 0, 1, vcc
	v_lshrrev_b32_e32 v16, 8, v18
	v_and_or_b32 v17, v16, s10, v15
	v_bfe_u32 v16, v18, 20, 11
	v_sub_u32_e32 v19, 0x3f1, v16
	v_or_b32_e32 v15, 0x1000, v17
	v_med3_i32 v19, v19, 0, 13
	v_lshrrev_b32_e32 v20, v19, v15
	v_lshlrev_b32_e32 v19, v19, v20
	v_cmp_ne_u32_e32 vcc, v19, v15
	v_cndmask_b32_e64 v15, 0, 1, vcc
	v_add_u32_e32 v21, 0xfffffc10, v16
	v_or_b32_e32 v15, v20, v15
	v_lshl_or_b32 v16, v21, 12, v17
	v_cmp_gt_i32_e32 vcc, 1, v21
	v_cndmask_b32_e32 v15, v16, v15, vcc
	v_and_b32_e32 v16, 7, v15
	v_cmp_lt_i32_e32 vcc, 5, v16
	v_cmp_eq_u32_e64 s[2:3], 3, v16
	v_lshrrev_b32_e32 v19, 2, v15
	ds_read2_b32 v[15:16], v9 offset0:44 offset1:100
	s_or_b64 vcc, s[2:3], vcc
	v_addc_co_u32_e32 v19, vcc, 0, v19, vcc
	v_cmp_gt_i32_e32 vcc, 31, v21
	s_waitcnt lgkmcnt(0)
	v_lshrrev_b32_e32 v23, 16, v15
	v_cndmask_b32_e32 v22, v2, v19, vcc
	v_mul_f16_sdwa v19, v97, v23 dst_sel:DWORD dst_unused:UNUSED_PAD src0_sel:WORD_1 src1_sel:DWORD
	v_fma_f16 v19, v97, v15, v19
	v_cvt_f32_f16_e32 v19, v19
	v_cmp_ne_u32_e32 vcc, 0, v17
	v_cndmask_b32_e64 v17, 0, 1, vcc
	v_lshl_or_b32 v17, v17, 9, v2
	v_cvt_f64_f32_e32 v[19:20], v19
	v_cmp_eq_u32_e32 vcc, s11, v21
	v_cndmask_b32_e32 v17, v22, v17, vcc
	v_lshrrev_b32_e32 v18, 16, v18
	v_and_or_b32 v21, v18, s14, v17
	v_mul_f64 v[17:18], v[19:20], s[12:13]
	v_and_b32_e32 v11, 0xffff, v11
	v_add_co_u32_e32 v13, vcc, s4, v13
	v_lshl_or_b32 v11, v21, 16, v11
	v_addc_co_u32_e32 v14, vcc, v14, v6, vcc
	global_store_dword v[13:14], v11, off
	v_and_or_b32 v11, v18, s15, v17
	v_cmp_ne_u32_e32 vcc, 0, v11
	v_cndmask_b32_e64 v11, 0, 1, vcc
	v_lshrrev_b32_e32 v17, 8, v18
	v_bfe_u32 v19, v18, 20, 11
	v_and_or_b32 v11, v17, s10, v11
	v_sub_u32_e32 v20, 0x3f1, v19
	v_or_b32_e32 v17, 0x1000, v11
	v_med3_i32 v20, v20, 0, 13
	v_lshrrev_b32_e32 v21, v20, v17
	v_lshlrev_b32_e32 v20, v20, v21
	v_cmp_ne_u32_e32 vcc, v20, v17
	v_mul_f16_sdwa v15, v97, v15 dst_sel:DWORD dst_unused:UNUSED_PAD src0_sel:WORD_1 src1_sel:DWORD
	v_cndmask_b32_e64 v17, 0, 1, vcc
	v_fma_f16 v15, v97, v23, -v15
	v_or_b32_e32 v17, v21, v17
	v_add_u32_e32 v21, 0xfffffc10, v19
	v_cvt_f32_f16_e32 v15, v15
	v_lshl_or_b32 v19, v21, 12, v11
	v_cmp_gt_i32_e32 vcc, 1, v21
	v_cndmask_b32_e32 v17, v19, v17, vcc
	v_and_b32_e32 v19, 7, v17
	v_cmp_lt_i32_e32 vcc, 5, v19
	v_cmp_eq_u32_e64 s[2:3], 3, v19
	v_cvt_f64_f32_e32 v[19:20], v15
	v_lshrrev_b32_e32 v17, 2, v17
	s_or_b64 vcc, s[2:3], vcc
	v_addc_co_u32_e32 v15, vcc, 0, v17, vcc
	v_mul_f64 v[19:20], v[19:20], s[12:13]
	v_cmp_gt_i32_e32 vcc, 31, v21
	v_cndmask_b32_e32 v15, v2, v15, vcc
	v_cmp_ne_u32_e32 vcc, 0, v11
	v_cndmask_b32_e64 v11, 0, 1, vcc
	v_lshl_or_b32 v11, v11, 9, v2
	v_cmp_eq_u32_e32 vcc, s11, v21
	v_cndmask_b32_e32 v11, v15, v11, vcc
	v_lshrrev_b32_e32 v15, 16, v18
	v_and_or_b32 v11, v15, s14, v11
	v_and_or_b32 v15, v20, s15, v19
	v_cmp_ne_u32_e32 vcc, 0, v15
	v_cndmask_b32_e64 v15, 0, 1, vcc
	v_lshrrev_b32_e32 v17, 8, v20
	v_bfe_u32 v18, v20, 20, 11
	v_and_or_b32 v15, v17, s10, v15
	v_sub_u32_e32 v19, 0x3f1, v18
	v_or_b32_e32 v17, 0x1000, v15
	v_med3_i32 v19, v19, 0, 13
	v_lshrrev_b32_e32 v21, v19, v17
	v_lshlrev_b32_e32 v19, v19, v21
	v_cmp_ne_u32_e32 vcc, v19, v17
	v_cndmask_b32_e64 v17, 0, 1, vcc
	v_add_u32_e32 v19, 0xfffffc10, v18
	v_or_b32_e32 v17, v21, v17
	v_lshl_or_b32 v18, v19, 12, v15
	v_cmp_gt_i32_e32 vcc, 1, v19
	v_cndmask_b32_e32 v17, v18, v17, vcc
	v_and_b32_e32 v18, 7, v17
	v_cmp_lt_i32_e32 vcc, 5, v18
	v_cmp_eq_u32_e64 s[2:3], 3, v18
	v_lshrrev_b32_e32 v17, 2, v17
	s_or_b64 vcc, s[2:3], vcc
	v_addc_co_u32_e32 v17, vcc, 0, v17, vcc
	v_cmp_gt_i32_e32 vcc, 31, v19
	v_lshrrev_b32_e32 v22, 16, v12
	v_cndmask_b32_e32 v21, v2, v17, vcc
	v_mul_f16_sdwa v17, v96, v22 dst_sel:DWORD dst_unused:UNUSED_PAD src0_sel:WORD_1 src1_sel:DWORD
	v_fma_f16 v17, v96, v12, v17
	v_cvt_f32_f16_e32 v17, v17
	v_cmp_ne_u32_e32 vcc, 0, v15
	v_cndmask_b32_e64 v15, 0, 1, vcc
	v_lshl_or_b32 v15, v15, 9, v2
	v_cvt_f64_f32_e32 v[17:18], v17
	v_cmp_eq_u32_e32 vcc, s11, v19
	v_cndmask_b32_e32 v15, v21, v15, vcc
	v_lshrrev_b32_e32 v19, 16, v20
	v_mul_f64 v[17:18], v[17:18], s[12:13]
	v_and_or_b32 v15, v19, s14, v15
	v_and_b32_e32 v11, 0xffff, v11
	v_add_co_u32_e32 v13, vcc, s6, v13
	v_lshl_or_b32 v11, v15, 16, v11
	v_addc_co_u32_e32 v14, vcc, v14, v3, vcc
	global_store_dword v[13:14], v11, off
	v_and_or_b32 v11, v18, s15, v17
	v_cmp_ne_u32_e32 vcc, 0, v11
	v_cndmask_b32_e64 v11, 0, 1, vcc
	v_lshrrev_b32_e32 v15, 8, v18
	v_bfe_u32 v17, v18, 20, 11
	v_and_or_b32 v15, v15, s10, v11
	v_sub_u32_e32 v19, 0x3f1, v17
	v_or_b32_e32 v11, 0x1000, v15
	v_med3_i32 v19, v19, 0, 13
	v_lshrrev_b32_e32 v20, v19, v11
	v_lshlrev_b32_e32 v19, v19, v20
	v_mul_f16_sdwa v12, v96, v12 dst_sel:DWORD dst_unused:UNUSED_PAD src0_sel:WORD_1 src1_sel:DWORD
	v_cmp_ne_u32_e32 vcc, v19, v11
	v_fma_f16 v12, v96, v22, -v12
	v_cndmask_b32_e64 v11, 0, 1, vcc
	v_add_u32_e32 v17, 0xfffffc10, v17
	v_cvt_f32_f16_e32 v12, v12
	v_or_b32_e32 v11, v20, v11
	v_lshl_or_b32 v19, v17, 12, v15
	v_cmp_gt_i32_e32 vcc, 1, v17
	v_cndmask_b32_e32 v11, v19, v11, vcc
	v_and_b32_e32 v19, 7, v11
	v_cmp_lt_i32_e32 vcc, 5, v19
	v_cmp_eq_u32_e64 s[2:3], 3, v19
	v_lshrrev_b32_e32 v19, 2, v11
	v_cvt_f64_f32_e32 v[11:12], v12
	s_or_b64 vcc, s[2:3], vcc
	v_addc_co_u32_e32 v19, vcc, 0, v19, vcc
	v_mul_f64 v[11:12], v[11:12], s[12:13]
	v_cmp_gt_i32_e32 vcc, 31, v17
	v_cndmask_b32_e32 v19, v2, v19, vcc
	v_cmp_ne_u32_e32 vcc, 0, v15
	v_cndmask_b32_e64 v15, 0, 1, vcc
	v_lshl_or_b32 v15, v15, 9, v2
	v_cmp_eq_u32_e32 vcc, s11, v17
	v_cndmask_b32_e32 v15, v19, v15, vcc
	v_and_or_b32 v11, v12, s15, v11
	v_lshrrev_b32_e32 v17, 16, v18
	v_cmp_ne_u32_e32 vcc, 0, v11
	v_and_or_b32 v15, v17, s14, v15
	v_cndmask_b32_e64 v11, 0, 1, vcc
	v_lshrrev_b32_e32 v17, 8, v12
	v_bfe_u32 v18, v12, 20, 11
	v_and_or_b32 v11, v17, s10, v11
	v_sub_u32_e32 v19, 0x3f1, v18
	v_or_b32_e32 v17, 0x1000, v11
	v_med3_i32 v19, v19, 0, 13
	v_lshrrev_b32_e32 v20, v19, v17
	v_lshlrev_b32_e32 v19, v19, v20
	v_cmp_ne_u32_e32 vcc, v19, v17
	v_cndmask_b32_e64 v17, 0, 1, vcc
	v_add_u32_e32 v19, 0xfffffc10, v18
	v_or_b32_e32 v17, v20, v17
	v_lshl_or_b32 v18, v19, 12, v11
	v_cmp_gt_i32_e32 vcc, 1, v19
	v_cndmask_b32_e32 v17, v18, v17, vcc
	v_and_b32_e32 v18, 7, v17
	v_cmp_lt_i32_e32 vcc, 5, v18
	v_cmp_eq_u32_e64 s[2:3], 3, v18
	v_lshrrev_b32_e32 v17, 2, v17
	s_or_b64 vcc, s[2:3], vcc
	v_addc_co_u32_e32 v17, vcc, 0, v17, vcc
	v_cmp_gt_i32_e32 vcc, 31, v19
	v_lshrrev_b32_e32 v21, 16, v16
	v_cndmask_b32_e32 v20, v2, v17, vcc
	v_mul_f16_sdwa v17, v95, v21 dst_sel:DWORD dst_unused:UNUSED_PAD src0_sel:WORD_1 src1_sel:DWORD
	v_fma_f16 v17, v95, v16, v17
	v_cvt_f32_f16_e32 v17, v17
	v_cmp_ne_u32_e32 vcc, 0, v11
	v_cndmask_b32_e64 v11, 0, 1, vcc
	v_lshl_or_b32 v11, v11, 9, v2
	v_cvt_f64_f32_e32 v[17:18], v17
	v_cmp_eq_u32_e32 vcc, s11, v19
	v_cndmask_b32_e32 v11, v20, v11, vcc
	v_lshrrev_b32_e32 v12, 16, v12
	v_and_or_b32 v19, v12, s14, v11
	v_mul_f64 v[11:12], v[17:18], s[12:13]
	v_add_co_u32_e32 v13, vcc, s4, v13
	v_and_b32_e32 v15, 0xffff, v15
	v_addc_co_u32_e32 v14, vcc, v14, v6, vcc
	v_lshl_or_b32 v15, v19, 16, v15
	global_store_dword v[13:14], v15, off
	v_and_or_b32 v11, v12, s15, v11
	v_cmp_ne_u32_e32 vcc, 0, v11
	v_cndmask_b32_e64 v11, 0, 1, vcc
	v_lshrrev_b32_e32 v15, 8, v12
	v_bfe_u32 v17, v12, 20, 11
	v_and_or_b32 v11, v15, s10, v11
	v_sub_u32_e32 v18, 0x3f1, v17
	v_or_b32_e32 v15, 0x1000, v11
	v_med3_i32 v18, v18, 0, 13
	v_lshrrev_b32_e32 v19, v18, v15
	v_lshlrev_b32_e32 v18, v18, v19
	v_mul_f16_sdwa v16, v95, v16 dst_sel:DWORD dst_unused:UNUSED_PAD src0_sel:WORD_1 src1_sel:DWORD
	v_cmp_ne_u32_e32 vcc, v18, v15
	v_fma_f16 v16, v95, v21, -v16
	v_cndmask_b32_e64 v15, 0, 1, vcc
	v_add_u32_e32 v17, 0xfffffc10, v17
	v_cvt_f32_f16_e32 v16, v16
	v_or_b32_e32 v15, v19, v15
	v_lshl_or_b32 v18, v17, 12, v11
	v_cmp_gt_i32_e32 vcc, 1, v17
	v_cndmask_b32_e32 v15, v18, v15, vcc
	v_and_b32_e32 v18, 7, v15
	v_cmp_lt_i32_e32 vcc, 5, v18
	v_cmp_eq_u32_e64 s[2:3], 3, v18
	v_lshrrev_b32_e32 v18, 2, v15
	v_cvt_f64_f32_e32 v[15:16], v16
	s_or_b64 vcc, s[2:3], vcc
	v_addc_co_u32_e32 v18, vcc, 0, v18, vcc
	v_mul_f64 v[15:16], v[15:16], s[12:13]
	v_cmp_gt_i32_e32 vcc, 31, v17
	v_cndmask_b32_e32 v18, v2, v18, vcc
	v_cmp_ne_u32_e32 vcc, 0, v11
	v_cndmask_b32_e64 v11, 0, 1, vcc
	v_lshl_or_b32 v11, v11, 9, v2
	v_cmp_eq_u32_e32 vcc, s11, v17
	v_cndmask_b32_e32 v11, v18, v11, vcc
	v_lshrrev_b32_e32 v12, 16, v12
	v_and_or_b32 v12, v12, s14, v11
	v_and_or_b32 v11, v16, s15, v15
	v_cmp_ne_u32_e32 vcc, 0, v11
	v_cndmask_b32_e64 v11, 0, 1, vcc
	v_lshrrev_b32_e32 v15, 8, v16
	v_bfe_u32 v17, v16, 20, 11
	v_and_or_b32 v15, v15, s10, v11
	v_sub_u32_e32 v18, 0x3f1, v17
	v_or_b32_e32 v11, 0x1000, v15
	v_med3_i32 v18, v18, 0, 13
	v_lshrrev_b32_e32 v19, v18, v11
	v_lshlrev_b32_e32 v18, v18, v19
	v_cmp_ne_u32_e32 vcc, v18, v11
	v_cndmask_b32_e64 v11, 0, 1, vcc
	v_or_b32_e32 v11, v19, v11
	v_add_u32_e32 v19, 0xfffffc10, v17
	v_lshl_or_b32 v17, v19, 12, v15
	v_cmp_gt_i32_e32 vcc, 1, v19
	v_cndmask_b32_e32 v11, v17, v11, vcc
	v_and_b32_e32 v17, 7, v11
	v_cmp_lt_i32_e32 vcc, 5, v17
	v_cmp_eq_u32_e64 s[2:3], 3, v17
	v_lshrrev_b32_e32 v17, 2, v11
	ds_read2_b32 v[10:11], v10 offset0:96 offset1:152
	s_or_b64 vcc, s[2:3], vcc
	v_addc_co_u32_e32 v17, vcc, 0, v17, vcc
	v_cmp_gt_i32_e32 vcc, 31, v19
	s_waitcnt lgkmcnt(0)
	v_lshrrev_b32_e32 v21, 16, v10
	v_cndmask_b32_e32 v20, v2, v17, vcc
	v_mul_f16_sdwa v17, v94, v21 dst_sel:DWORD dst_unused:UNUSED_PAD src0_sel:WORD_1 src1_sel:DWORD
	v_fma_f16 v17, v94, v10, v17
	v_cvt_f32_f16_e32 v17, v17
	v_cmp_ne_u32_e32 vcc, 0, v15
	v_cndmask_b32_e64 v15, 0, 1, vcc
	v_lshl_or_b32 v15, v15, 9, v2
	v_cvt_f64_f32_e32 v[17:18], v17
	v_cmp_eq_u32_e32 vcc, s11, v19
	v_cndmask_b32_e32 v15, v20, v15, vcc
	v_lshrrev_b32_e32 v16, 16, v16
	v_and_or_b32 v19, v16, s14, v15
	v_mul_f64 v[15:16], v[17:18], s[12:13]
	v_and_b32_e32 v12, 0xffff, v12
	v_lshl_or_b32 v17, v19, 16, v12
	v_add_co_u32_e32 v12, vcc, s6, v13
	v_addc_co_u32_e32 v13, vcc, v14, v3, vcc
	global_store_dword v[12:13], v17, off
	v_and_or_b32 v14, v16, s15, v15
	v_cmp_ne_u32_e32 vcc, 0, v14
	v_cndmask_b32_e64 v14, 0, 1, vcc
	v_lshrrev_b32_e32 v15, 8, v16
	v_and_or_b32 v17, v15, s10, v14
	v_bfe_u32 v15, v16, 20, 11
	v_sub_u32_e32 v18, 0x3f1, v15
	v_or_b32_e32 v14, 0x1000, v17
	v_med3_i32 v18, v18, 0, 13
	v_lshrrev_b32_e32 v19, v18, v14
	v_lshlrev_b32_e32 v18, v18, v19
	v_mul_f16_sdwa v10, v94, v10 dst_sel:DWORD dst_unused:UNUSED_PAD src0_sel:WORD_1 src1_sel:DWORD
	v_cmp_ne_u32_e32 vcc, v18, v14
	v_fma_f16 v10, v94, v21, -v10
	v_cndmask_b32_e64 v14, 0, 1, vcc
	v_add_u32_e32 v18, 0xfffffc10, v15
	v_cvt_f32_f16_e32 v10, v10
	v_or_b32_e32 v14, v19, v14
	v_lshl_or_b32 v15, v18, 12, v17
	v_cmp_gt_i32_e32 vcc, 1, v18
	v_cndmask_b32_e32 v14, v15, v14, vcc
	v_and_b32_e32 v15, 7, v14
	v_cmp_lt_i32_e32 vcc, 5, v15
	v_cmp_eq_u32_e64 s[2:3], 3, v15
	v_lshrrev_b32_e32 v19, 2, v14
	v_cvt_f64_f32_e32 v[14:15], v10
	s_or_b64 vcc, s[2:3], vcc
	v_addc_co_u32_e32 v10, vcc, 0, v19, vcc
	v_mul_f64 v[14:15], v[14:15], s[12:13]
	v_cmp_gt_i32_e32 vcc, 31, v18
	v_cndmask_b32_e32 v10, v2, v10, vcc
	v_cmp_ne_u32_e32 vcc, 0, v17
	v_cndmask_b32_e64 v17, 0, 1, vcc
	v_lshl_or_b32 v17, v17, 9, v2
	v_cmp_eq_u32_e32 vcc, s11, v18
	v_cndmask_b32_e32 v10, v10, v17, vcc
	v_lshrrev_b32_e32 v16, 16, v16
	v_and_or_b32 v18, v16, s14, v10
	v_and_or_b32 v10, v15, s15, v14
	v_cmp_ne_u32_e32 vcc, 0, v10
	v_cndmask_b32_e64 v10, 0, 1, vcc
	v_lshrrev_b32_e32 v14, 8, v15
	v_bfe_u32 v16, v15, 20, 11
	v_and_or_b32 v14, v14, s10, v10
	v_sub_u32_e32 v17, 0x3f1, v16
	v_or_b32_e32 v10, 0x1000, v14
	v_med3_i32 v17, v17, 0, 13
	v_lshrrev_b32_e32 v19, v17, v10
	v_lshlrev_b32_e32 v17, v17, v19
	v_cmp_ne_u32_e32 vcc, v17, v10
	v_cndmask_b32_e64 v10, 0, 1, vcc
	v_or_b32_e32 v10, v19, v10
	v_add_u32_e32 v19, 0xfffffc10, v16
	v_lshl_or_b32 v16, v19, 12, v14
	v_cmp_gt_i32_e32 vcc, 1, v19
	v_cndmask_b32_e32 v10, v16, v10, vcc
	v_and_b32_e32 v16, 7, v10
	v_cmp_lt_i32_e32 vcc, 5, v16
	v_cmp_eq_u32_e64 s[2:3], 3, v16
	v_lshrrev_b32_e32 v16, 2, v10
	ds_read2_b32 v[9:10], v9 offset0:156 offset1:212
	s_or_b64 vcc, s[2:3], vcc
	v_addc_co_u32_e32 v16, vcc, 0, v16, vcc
	v_cmp_gt_i32_e32 vcc, 31, v19
	s_waitcnt lgkmcnt(0)
	v_lshrrev_b32_e32 v21, 16, v9
	v_cndmask_b32_e32 v20, v2, v16, vcc
	v_mul_f16_sdwa v16, v92, v21 dst_sel:DWORD dst_unused:UNUSED_PAD src0_sel:WORD_1 src1_sel:DWORD
	v_fma_f16 v16, v92, v9, v16
	v_cvt_f32_f16_e32 v16, v16
	v_cmp_ne_u32_e32 vcc, 0, v14
	v_cndmask_b32_e64 v14, 0, 1, vcc
	v_lshl_or_b32 v14, v14, 9, v2
	v_cvt_f64_f32_e32 v[16:17], v16
	v_cmp_eq_u32_e32 vcc, s11, v19
	v_cndmask_b32_e32 v14, v20, v14, vcc
	v_lshrrev_b32_e32 v15, 16, v15
	v_and_or_b32 v19, v15, s14, v14
	v_mul_f64 v[14:15], v[16:17], s[12:13]
	v_add_co_u32_e32 v12, vcc, s4, v12
	v_and_b32_e32 v16, 0xffff, v18
	v_addc_co_u32_e32 v13, vcc, v13, v6, vcc
	v_lshl_or_b32 v16, v19, 16, v16
	global_store_dword v[12:13], v16, off
	v_and_or_b32 v14, v15, s15, v14
	v_cmp_ne_u32_e32 vcc, 0, v14
	v_cndmask_b32_e64 v14, 0, 1, vcc
	v_lshrrev_b32_e32 v16, 8, v15
	v_bfe_u32 v17, v15, 20, 11
	v_and_or_b32 v14, v16, s10, v14
	v_sub_u32_e32 v18, 0x3f1, v17
	v_or_b32_e32 v16, 0x1000, v14
	v_med3_i32 v18, v18, 0, 13
	v_lshrrev_b32_e32 v19, v18, v16
	v_lshlrev_b32_e32 v18, v18, v19
	v_mul_f16_sdwa v9, v92, v9 dst_sel:DWORD dst_unused:UNUSED_PAD src0_sel:WORD_1 src1_sel:DWORD
	v_cmp_ne_u32_e32 vcc, v18, v16
	v_fma_f16 v9, v92, v21, -v9
	v_cndmask_b32_e64 v16, 0, 1, vcc
	v_add_u32_e32 v18, 0xfffffc10, v17
	v_cvt_f32_f16_e32 v9, v9
	v_or_b32_e32 v16, v19, v16
	v_lshl_or_b32 v17, v18, 12, v14
	v_cmp_gt_i32_e32 vcc, 1, v18
	v_cndmask_b32_e32 v16, v17, v16, vcc
	v_and_b32_e32 v17, 7, v16
	v_cmp_lt_i32_e32 vcc, 5, v17
	v_cmp_eq_u32_e64 s[2:3], 3, v17
	v_lshrrev_b32_e32 v19, 2, v16
	v_cvt_f64_f32_e32 v[16:17], v9
	s_or_b64 vcc, s[2:3], vcc
	v_addc_co_u32_e32 v9, vcc, 0, v19, vcc
	v_mul_f64 v[16:17], v[16:17], s[12:13]
	v_cmp_gt_i32_e32 vcc, 31, v18
	v_cndmask_b32_e32 v9, v2, v9, vcc
	v_cmp_ne_u32_e32 vcc, 0, v14
	v_cndmask_b32_e64 v14, 0, 1, vcc
	v_lshl_or_b32 v14, v14, 9, v2
	v_cmp_eq_u32_e32 vcc, s11, v18
	v_cndmask_b32_e32 v9, v9, v14, vcc
	v_lshrrev_b32_e32 v14, 16, v15
	v_and_or_b32 v9, v14, s14, v9
	v_and_or_b32 v14, v17, s15, v16
	v_cmp_ne_u32_e32 vcc, 0, v14
	v_cndmask_b32_e64 v14, 0, 1, vcc
	v_lshrrev_b32_e32 v15, 8, v17
	v_bfe_u32 v16, v17, 20, 11
	v_and_or_b32 v14, v15, s10, v14
	v_sub_u32_e32 v18, 0x3f1, v16
	v_or_b32_e32 v15, 0x1000, v14
	v_med3_i32 v18, v18, 0, 13
	v_lshrrev_b32_e32 v19, v18, v15
	v_lshlrev_b32_e32 v18, v18, v19
	v_cmp_ne_u32_e32 vcc, v18, v15
	v_cndmask_b32_e64 v15, 0, 1, vcc
	v_add_u32_e32 v16, 0xfffffc10, v16
	v_or_b32_e32 v15, v19, v15
	v_lshl_or_b32 v18, v16, 12, v14
	v_cmp_gt_i32_e32 vcc, 1, v16
	v_cndmask_b32_e32 v15, v18, v15, vcc
	v_and_b32_e32 v18, 7, v15
	v_cmp_lt_i32_e32 vcc, 5, v18
	v_cmp_eq_u32_e64 s[2:3], 3, v18
	v_lshrrev_b32_e32 v15, 2, v15
	s_or_b64 vcc, s[2:3], vcc
	v_addc_co_u32_e32 v15, vcc, 0, v15, vcc
	v_cmp_gt_i32_e32 vcc, 31, v16
	v_lshrrev_b32_e32 v19, 16, v11
	v_cndmask_b32_e32 v18, v2, v15, vcc
	v_mul_f16_sdwa v15, v91, v19 dst_sel:DWORD dst_unused:UNUSED_PAD src0_sel:WORD_1 src1_sel:DWORD
	v_fma_f16 v15, v91, v11, v15
	v_cvt_f32_f16_e32 v15, v15
	v_cmp_ne_u32_e32 vcc, 0, v14
	v_cndmask_b32_e64 v14, 0, 1, vcc
	v_lshl_or_b32 v20, v14, 9, v2
	v_cvt_f64_f32_e32 v[14:15], v15
	v_cmp_eq_u32_e32 vcc, s11, v16
	v_cndmask_b32_e32 v16, v18, v20, vcc
	v_lshrrev_b32_e32 v17, 16, v17
	v_mul_f64 v[14:15], v[14:15], s[12:13]
	v_and_or_b32 v16, v17, s14, v16
	v_and_b32_e32 v9, 0xffff, v9
	v_add_co_u32_e32 v12, vcc, s6, v12
	v_lshl_or_b32 v9, v16, 16, v9
	v_addc_co_u32_e32 v13, vcc, v13, v3, vcc
	global_store_dword v[12:13], v9, off
	v_and_or_b32 v9, v15, s15, v14
	v_cmp_ne_u32_e32 vcc, 0, v9
	v_cndmask_b32_e64 v9, 0, 1, vcc
	v_lshrrev_b32_e32 v14, 8, v15
	v_bfe_u32 v16, v15, 20, 11
	v_and_or_b32 v9, v14, s10, v9
	v_sub_u32_e32 v17, 0x3f1, v16
	v_or_b32_e32 v14, 0x1000, v9
	v_med3_i32 v17, v17, 0, 13
	v_lshrrev_b32_e32 v18, v17, v14
	v_lshlrev_b32_e32 v17, v17, v18
	v_cmp_ne_u32_e32 vcc, v17, v14
	v_mul_f16_sdwa v11, v91, v11 dst_sel:DWORD dst_unused:UNUSED_PAD src0_sel:WORD_1 src1_sel:DWORD
	v_cndmask_b32_e64 v14, 0, 1, vcc
	v_fma_f16 v11, v91, v19, -v11
	v_or_b32_e32 v14, v18, v14
	v_add_u32_e32 v18, 0xfffffc10, v16
	v_cvt_f32_f16_e32 v11, v11
	v_lshl_or_b32 v16, v18, 12, v9
	v_cmp_gt_i32_e32 vcc, 1, v18
	v_cndmask_b32_e32 v14, v16, v14, vcc
	v_and_b32_e32 v16, 7, v14
	v_cmp_lt_i32_e32 vcc, 5, v16
	v_cmp_eq_u32_e64 s[2:3], 3, v16
	v_cvt_f64_f32_e32 v[16:17], v11
	v_lshrrev_b32_e32 v14, 2, v14
	s_or_b64 vcc, s[2:3], vcc
	v_addc_co_u32_e32 v11, vcc, 0, v14, vcc
	v_mul_f64 v[16:17], v[16:17], s[12:13]
	v_cmp_gt_i32_e32 vcc, 31, v18
	v_cndmask_b32_e32 v11, v2, v11, vcc
	v_cmp_ne_u32_e32 vcc, 0, v9
	v_cndmask_b32_e64 v9, 0, 1, vcc
	v_lshl_or_b32 v9, v9, 9, v2
	v_cmp_eq_u32_e32 vcc, s11, v18
	v_cndmask_b32_e32 v9, v11, v9, vcc
	v_lshrrev_b32_e32 v11, 16, v15
	v_and_or_b32 v9, v11, s14, v9
	v_and_or_b32 v11, v17, s15, v16
	v_cmp_ne_u32_e32 vcc, 0, v11
	v_cndmask_b32_e64 v11, 0, 1, vcc
	v_lshrrev_b32_e32 v14, 8, v17
	v_bfe_u32 v15, v17, 20, 11
	v_and_or_b32 v11, v14, s10, v11
	v_sub_u32_e32 v16, 0x3f1, v15
	v_or_b32_e32 v14, 0x1000, v11
	v_med3_i32 v16, v16, 0, 13
	v_lshrrev_b32_e32 v18, v16, v14
	v_lshlrev_b32_e32 v16, v16, v18
	v_cmp_ne_u32_e32 vcc, v16, v14
	v_cndmask_b32_e64 v14, 0, 1, vcc
	v_add_u32_e32 v16, 0xfffffc10, v15
	v_or_b32_e32 v14, v18, v14
	v_lshl_or_b32 v15, v16, 12, v11
	v_cmp_gt_i32_e32 vcc, 1, v16
	v_cndmask_b32_e32 v14, v15, v14, vcc
	v_and_b32_e32 v15, 7, v14
	v_cmp_lt_i32_e32 vcc, 5, v15
	v_cmp_eq_u32_e64 s[2:3], 3, v15
	v_lshrrev_b32_e32 v14, 2, v14
	s_or_b64 vcc, s[2:3], vcc
	v_addc_co_u32_e32 v14, vcc, 0, v14, vcc
	v_cmp_gt_i32_e32 vcc, 31, v16
	v_lshrrev_b32_e32 v19, 16, v10
	v_cndmask_b32_e32 v18, v2, v14, vcc
	v_mul_f16_sdwa v14, v93, v19 dst_sel:DWORD dst_unused:UNUSED_PAD src0_sel:WORD_1 src1_sel:DWORD
	v_fma_f16 v14, v93, v10, v14
	v_cvt_f32_f16_e32 v14, v14
	v_cmp_ne_u32_e32 vcc, 0, v11
	v_cndmask_b32_e64 v11, 0, 1, vcc
	v_lshl_or_b32 v11, v11, 9, v2
	v_cvt_f64_f32_e32 v[14:15], v14
	v_cmp_eq_u32_e32 vcc, s11, v16
	v_cndmask_b32_e32 v11, v18, v11, vcc
	v_lshrrev_b32_e32 v16, 16, v17
	v_mul_f64 v[14:15], v[14:15], s[12:13]
	v_and_or_b32 v11, v16, s14, v11
	v_and_b32_e32 v9, 0xffff, v9
	v_lshl_or_b32 v9, v11, 16, v9
	v_add_co_u32_e32 v11, vcc, s4, v12
	v_addc_co_u32_e32 v12, vcc, v13, v6, vcc
	global_store_dword v[11:12], v9, off
	v_and_or_b32 v9, v15, s15, v14
	v_cmp_ne_u32_e32 vcc, 0, v9
	v_cndmask_b32_e64 v9, 0, 1, vcc
	v_lshrrev_b32_e32 v13, 8, v15
	v_bfe_u32 v14, v15, 20, 11
	v_and_or_b32 v13, v13, s10, v9
	v_sub_u32_e32 v16, 0x3f1, v14
	v_or_b32_e32 v9, 0x1000, v13
	v_med3_i32 v16, v16, 0, 13
	v_lshrrev_b32_e32 v17, v16, v9
	v_lshlrev_b32_e32 v16, v16, v17
	v_mul_f16_sdwa v10, v93, v10 dst_sel:DWORD dst_unused:UNUSED_PAD src0_sel:WORD_1 src1_sel:DWORD
	v_cmp_ne_u32_e32 vcc, v16, v9
	v_fma_f16 v10, v93, v19, -v10
	v_cndmask_b32_e64 v9, 0, 1, vcc
	v_add_u32_e32 v14, 0xfffffc10, v14
	v_cvt_f32_f16_e32 v10, v10
	v_or_b32_e32 v9, v17, v9
	v_lshl_or_b32 v16, v14, 12, v13
	v_cmp_gt_i32_e32 vcc, 1, v14
	v_cndmask_b32_e32 v9, v16, v9, vcc
	v_and_b32_e32 v16, 7, v9
	v_cmp_lt_i32_e32 vcc, 5, v16
	v_cmp_eq_u32_e64 s[2:3], 3, v16
	v_lshrrev_b32_e32 v16, 2, v9
	v_cvt_f64_f32_e32 v[9:10], v10
	s_or_b64 vcc, s[2:3], vcc
	v_addc_co_u32_e32 v16, vcc, 0, v16, vcc
	v_mul_f64 v[9:10], v[9:10], s[12:13]
	v_cmp_gt_i32_e32 vcc, 31, v14
	v_cndmask_b32_e32 v16, v2, v16, vcc
	v_cmp_ne_u32_e32 vcc, 0, v13
	v_cndmask_b32_e64 v13, 0, 1, vcc
	v_lshl_or_b32 v13, v13, 9, v2
	v_cmp_eq_u32_e32 vcc, s11, v14
	v_cndmask_b32_e32 v13, v16, v13, vcc
	v_and_or_b32 v9, v10, s15, v9
	v_lshrrev_b32_e32 v14, 16, v15
	v_cmp_ne_u32_e32 vcc, 0, v9
	v_and_or_b32 v17, v14, s14, v13
	v_cndmask_b32_e64 v9, 0, 1, vcc
	v_lshrrev_b32_e32 v13, 8, v10
	v_bfe_u32 v14, v10, 20, 11
	v_and_or_b32 v9, v13, s10, v9
	v_sub_u32_e32 v15, 0x3f1, v14
	v_or_b32_e32 v13, 0x1000, v9
	v_med3_i32 v15, v15, 0, 13
	v_lshrrev_b32_e32 v16, v15, v13
	v_lshlrev_b32_e32 v15, v15, v16
	v_cmp_ne_u32_e32 vcc, v15, v13
	v_cndmask_b32_e64 v13, 0, 1, vcc
	v_add_u32_e32 v18, 0xfffffc10, v14
	v_or_b32_e32 v13, v16, v13
	v_lshl_or_b32 v14, v18, 12, v9
	v_cmp_gt_i32_e32 vcc, 1, v18
	v_cndmask_b32_e32 v13, v14, v13, vcc
	v_and_b32_e32 v14, 7, v13
	v_cmp_lt_i32_e32 vcc, 5, v14
	v_cmp_eq_u32_e64 s[2:3], 3, v14
	v_lshrrev_b32_e32 v15, 2, v13
	ds_read2_b32 v[13:14], v5 offset0:80 offset1:136
	s_or_b64 vcc, s[2:3], vcc
	v_addc_co_u32_e32 v15, vcc, 0, v15, vcc
	v_cmp_gt_i32_e32 vcc, 31, v18
	s_waitcnt lgkmcnt(0)
	v_lshrrev_b32_e32 v20, 16, v13
	v_cndmask_b32_e32 v19, v2, v15, vcc
	v_mul_f16_sdwa v15, v89, v20 dst_sel:DWORD dst_unused:UNUSED_PAD src0_sel:WORD_1 src1_sel:DWORD
	v_fma_f16 v15, v89, v13, v15
	v_cvt_f32_f16_e32 v15, v15
	v_cmp_ne_u32_e32 vcc, 0, v9
	v_cndmask_b32_e64 v9, 0, 1, vcc
	v_lshl_or_b32 v9, v9, 9, v2
	v_cvt_f64_f32_e32 v[15:16], v15
	v_cmp_eq_u32_e32 vcc, s11, v18
	v_cndmask_b32_e32 v9, v19, v9, vcc
	v_lshrrev_b32_e32 v10, 16, v10
	v_and_or_b32 v18, v10, s14, v9
	v_mul_f64 v[9:10], v[15:16], s[12:13]
	v_add_co_u32_e32 v11, vcc, s6, v11
	v_and_b32_e32 v15, 0xffff, v17
	v_addc_co_u32_e32 v12, vcc, v12, v3, vcc
	v_lshl_or_b32 v15, v18, 16, v15
	global_store_dword v[11:12], v15, off
	v_and_or_b32 v9, v10, s15, v9
	v_cmp_ne_u32_e32 vcc, 0, v9
	v_cndmask_b32_e64 v9, 0, 1, vcc
	v_lshrrev_b32_e32 v15, 8, v10
	v_bfe_u32 v16, v10, 20, 11
	v_and_or_b32 v9, v15, s10, v9
	v_sub_u32_e32 v17, 0x3f1, v16
	v_or_b32_e32 v15, 0x1000, v9
	v_med3_i32 v17, v17, 0, 13
	v_lshrrev_b32_e32 v18, v17, v15
	v_lshlrev_b32_e32 v17, v17, v18
	v_mul_f16_sdwa v13, v89, v13 dst_sel:DWORD dst_unused:UNUSED_PAD src0_sel:WORD_1 src1_sel:DWORD
	v_cmp_ne_u32_e32 vcc, v17, v15
	v_fma_f16 v13, v89, v20, -v13
	v_cndmask_b32_e64 v15, 0, 1, vcc
	v_add_u32_e32 v17, 0xfffffc10, v16
	v_cvt_f32_f16_e32 v13, v13
	v_or_b32_e32 v15, v18, v15
	v_lshl_or_b32 v16, v17, 12, v9
	v_cmp_gt_i32_e32 vcc, 1, v17
	v_cndmask_b32_e32 v15, v16, v15, vcc
	v_and_b32_e32 v16, 7, v15
	v_cmp_lt_i32_e32 vcc, 5, v16
	v_cmp_eq_u32_e64 s[2:3], 3, v16
	v_lshrrev_b32_e32 v18, 2, v15
	v_cvt_f64_f32_e32 v[15:16], v13
	s_or_b64 vcc, s[2:3], vcc
	v_addc_co_u32_e32 v13, vcc, 0, v18, vcc
	v_mul_f64 v[15:16], v[15:16], s[12:13]
	v_cmp_gt_i32_e32 vcc, 31, v17
	v_cndmask_b32_e32 v13, v2, v13, vcc
	v_cmp_ne_u32_e32 vcc, 0, v9
	v_cndmask_b32_e64 v9, 0, 1, vcc
	v_lshl_or_b32 v9, v9, 9, v2
	v_cmp_eq_u32_e32 vcc, s11, v17
	v_cndmask_b32_e32 v9, v13, v9, vcc
	v_lshrrev_b32_e32 v10, 16, v10
	v_and_or_b32 v13, v10, s14, v9
	v_and_or_b32 v9, v16, s15, v15
	v_cmp_ne_u32_e32 vcc, 0, v9
	v_cndmask_b32_e64 v9, 0, 1, vcc
	v_lshrrev_b32_e32 v10, 8, v16
	v_and_or_b32 v15, v10, s10, v9
	v_bfe_u32 v10, v16, 20, 11
	v_sub_u32_e32 v17, 0x3f1, v10
	v_or_b32_e32 v9, 0x1000, v15
	v_med3_i32 v17, v17, 0, 13
	v_lshrrev_b32_e32 v18, v17, v9
	v_lshlrev_b32_e32 v17, v17, v18
	v_cmp_ne_u32_e32 vcc, v17, v9
	v_cndmask_b32_e64 v9, 0, 1, vcc
	v_add_u32_e32 v19, 0xfffffc10, v10
	v_or_b32_e32 v9, v18, v9
	v_lshl_or_b32 v10, v19, 12, v15
	v_cmp_gt_i32_e32 vcc, 1, v19
	v_cndmask_b32_e32 v9, v10, v9, vcc
	v_and_b32_e32 v10, 7, v9
	v_cmp_lt_i32_e32 vcc, 5, v10
	v_cmp_eq_u32_e64 s[2:3], 3, v10
	v_lshrrev_b32_e32 v17, 2, v9
	ds_read2_b32 v[9:10], v4 offset0:12 offset1:68
	s_or_b64 vcc, s[2:3], vcc
	v_addc_co_u32_e32 v17, vcc, 0, v17, vcc
	v_cmp_gt_i32_e32 vcc, 31, v19
	s_waitcnt lgkmcnt(0)
	v_lshrrev_b32_e32 v21, 16, v9
	v_cndmask_b32_e32 v20, v2, v17, vcc
	v_mul_f16_sdwa v17, v90, v21 dst_sel:DWORD dst_unused:UNUSED_PAD src0_sel:WORD_1 src1_sel:DWORD
	v_fma_f16 v17, v90, v9, v17
	v_cvt_f32_f16_e32 v17, v17
	v_cmp_ne_u32_e32 vcc, 0, v15
	v_cndmask_b32_e64 v15, 0, 1, vcc
	v_lshl_or_b32 v15, v15, 9, v2
	v_cvt_f64_f32_e32 v[17:18], v17
	v_cmp_eq_u32_e32 vcc, s11, v19
	v_cndmask_b32_e32 v15, v20, v15, vcc
	v_lshrrev_b32_e32 v16, 16, v16
	v_and_or_b32 v19, v16, s14, v15
	v_mul_f64 v[15:16], v[17:18], s[12:13]
	v_and_b32_e32 v13, 0xffff, v13
	v_add_co_u32_e32 v11, vcc, s4, v11
	v_lshl_or_b32 v13, v19, 16, v13
	v_addc_co_u32_e32 v12, vcc, v12, v6, vcc
	global_store_dword v[11:12], v13, off
	v_and_or_b32 v13, v16, s15, v15
	v_cmp_ne_u32_e32 vcc, 0, v13
	v_cndmask_b32_e64 v13, 0, 1, vcc
	v_lshrrev_b32_e32 v15, 8, v16
	v_bfe_u32 v17, v16, 20, 11
	v_and_or_b32 v13, v15, s10, v13
	v_sub_u32_e32 v18, 0x3f1, v17
	v_or_b32_e32 v15, 0x1000, v13
	v_med3_i32 v18, v18, 0, 13
	v_lshrrev_b32_e32 v19, v18, v15
	v_lshlrev_b32_e32 v18, v18, v19
	v_cmp_ne_u32_e32 vcc, v18, v15
	v_mul_f16_sdwa v9, v90, v9 dst_sel:DWORD dst_unused:UNUSED_PAD src0_sel:WORD_1 src1_sel:DWORD
	v_cndmask_b32_e64 v15, 0, 1, vcc
	v_fma_f16 v9, v90, v21, -v9
	v_or_b32_e32 v15, v19, v15
	v_add_u32_e32 v19, 0xfffffc10, v17
	v_cvt_f32_f16_e32 v9, v9
	v_lshl_or_b32 v17, v19, 12, v13
	v_cmp_gt_i32_e32 vcc, 1, v19
	v_cndmask_b32_e32 v15, v17, v15, vcc
	v_and_b32_e32 v17, 7, v15
	v_cmp_lt_i32_e32 vcc, 5, v17
	v_cmp_eq_u32_e64 s[2:3], 3, v17
	v_cvt_f64_f32_e32 v[17:18], v9
	v_lshrrev_b32_e32 v15, 2, v15
	s_or_b64 vcc, s[2:3], vcc
	v_addc_co_u32_e32 v9, vcc, 0, v15, vcc
	v_mul_f64 v[17:18], v[17:18], s[12:13]
	v_cmp_gt_i32_e32 vcc, 31, v19
	v_cndmask_b32_e32 v9, v2, v9, vcc
	v_cmp_ne_u32_e32 vcc, 0, v13
	v_cndmask_b32_e64 v13, 0, 1, vcc
	v_lshl_or_b32 v13, v13, 9, v2
	v_cmp_eq_u32_e32 vcc, s11, v19
	v_cndmask_b32_e32 v9, v9, v13, vcc
	v_lshrrev_b32_e32 v13, 16, v16
	v_and_or_b32 v9, v13, s14, v9
	v_and_or_b32 v13, v18, s15, v17
	v_cmp_ne_u32_e32 vcc, 0, v13
	v_cndmask_b32_e64 v13, 0, 1, vcc
	v_lshrrev_b32_e32 v15, 8, v18
	v_bfe_u32 v16, v18, 20, 11
	v_and_or_b32 v13, v15, s10, v13
	v_sub_u32_e32 v17, 0x3f1, v16
	v_or_b32_e32 v15, 0x1000, v13
	v_med3_i32 v17, v17, 0, 13
	v_lshrrev_b32_e32 v19, v17, v15
	v_lshlrev_b32_e32 v17, v17, v19
	v_cmp_ne_u32_e32 vcc, v17, v15
	v_cndmask_b32_e64 v15, 0, 1, vcc
	v_add_u32_e32 v17, 0xfffffc10, v16
	v_or_b32_e32 v15, v19, v15
	v_lshl_or_b32 v16, v17, 12, v13
	v_cmp_gt_i32_e32 vcc, 1, v17
	v_cndmask_b32_e32 v15, v16, v15, vcc
	v_and_b32_e32 v16, 7, v15
	v_cmp_lt_i32_e32 vcc, 5, v16
	v_cmp_eq_u32_e64 s[2:3], 3, v16
	v_lshrrev_b32_e32 v15, 2, v15
	s_or_b64 vcc, s[2:3], vcc
	v_addc_co_u32_e32 v15, vcc, 0, v15, vcc
	v_cmp_gt_i32_e32 vcc, 31, v17
	v_lshrrev_b32_e32 v20, 16, v14
	v_cndmask_b32_e32 v19, v2, v15, vcc
	v_mul_f16_sdwa v15, v87, v20 dst_sel:DWORD dst_unused:UNUSED_PAD src0_sel:WORD_1 src1_sel:DWORD
	v_fma_f16 v15, v87, v14, v15
	v_cvt_f32_f16_e32 v15, v15
	v_cmp_ne_u32_e32 vcc, 0, v13
	v_cndmask_b32_e64 v13, 0, 1, vcc
	v_lshl_or_b32 v13, v13, 9, v2
	v_cvt_f64_f32_e32 v[15:16], v15
	v_cmp_eq_u32_e32 vcc, s11, v17
	v_cndmask_b32_e32 v13, v19, v13, vcc
	v_lshrrev_b32_e32 v17, 16, v18
	v_mul_f64 v[15:16], v[15:16], s[12:13]
	v_and_or_b32 v13, v17, s14, v13
	v_and_b32_e32 v9, 0xffff, v9
	v_add_co_u32_e32 v11, vcc, s6, v11
	v_lshl_or_b32 v9, v13, 16, v9
	v_addc_co_u32_e32 v12, vcc, v12, v3, vcc
	global_store_dword v[11:12], v9, off
	v_and_or_b32 v9, v16, s15, v15
	v_cmp_ne_u32_e32 vcc, 0, v9
	v_cndmask_b32_e64 v9, 0, 1, vcc
	v_lshrrev_b32_e32 v13, 8, v16
	v_bfe_u32 v15, v16, 20, 11
	v_and_or_b32 v9, v13, s10, v9
	v_sub_u32_e32 v17, 0x3f1, v15
	v_or_b32_e32 v13, 0x1000, v9
	v_med3_i32 v17, v17, 0, 13
	v_lshrrev_b32_e32 v18, v17, v13
	v_lshlrev_b32_e32 v17, v17, v18
	v_mul_f16_sdwa v14, v87, v14 dst_sel:DWORD dst_unused:UNUSED_PAD src0_sel:WORD_1 src1_sel:DWORD
	v_cmp_ne_u32_e32 vcc, v17, v13
	v_fma_f16 v14, v87, v20, -v14
	v_cndmask_b32_e64 v13, 0, 1, vcc
	v_add_u32_e32 v15, 0xfffffc10, v15
	v_cvt_f32_f16_e32 v14, v14
	v_or_b32_e32 v13, v18, v13
	v_lshl_or_b32 v17, v15, 12, v9
	v_cmp_gt_i32_e32 vcc, 1, v15
	v_cndmask_b32_e32 v13, v17, v13, vcc
	v_and_b32_e32 v17, 7, v13
	v_cmp_lt_i32_e32 vcc, 5, v17
	v_cmp_eq_u32_e64 s[2:3], 3, v17
	v_lshrrev_b32_e32 v17, 2, v13
	v_cvt_f64_f32_e32 v[13:14], v14
	s_or_b64 vcc, s[2:3], vcc
	v_addc_co_u32_e32 v17, vcc, 0, v17, vcc
	v_mul_f64 v[13:14], v[13:14], s[12:13]
	v_cmp_gt_i32_e32 vcc, 31, v15
	v_cndmask_b32_e32 v17, v2, v17, vcc
	v_cmp_ne_u32_e32 vcc, 0, v9
	v_cndmask_b32_e64 v9, 0, 1, vcc
	v_lshl_or_b32 v9, v9, 9, v2
	v_cmp_eq_u32_e32 vcc, s11, v15
	v_cndmask_b32_e32 v9, v17, v9, vcc
	v_and_or_b32 v13, v14, s15, v13
	v_lshrrev_b32_e32 v15, 16, v16
	v_cmp_ne_u32_e32 vcc, 0, v13
	v_and_or_b32 v9, v15, s14, v9
	v_cndmask_b32_e64 v13, 0, 1, vcc
	v_lshrrev_b32_e32 v15, 8, v14
	v_bfe_u32 v16, v14, 20, 11
	v_and_or_b32 v13, v15, s10, v13
	v_sub_u32_e32 v17, 0x3f1, v16
	v_or_b32_e32 v15, 0x1000, v13
	v_med3_i32 v17, v17, 0, 13
	v_lshrrev_b32_e32 v18, v17, v15
	v_lshlrev_b32_e32 v17, v17, v18
	v_cmp_ne_u32_e32 vcc, v17, v15
	v_cndmask_b32_e64 v15, 0, 1, vcc
	v_add_u32_e32 v17, 0xfffffc10, v16
	v_or_b32_e32 v15, v18, v15
	v_lshl_or_b32 v16, v17, 12, v13
	v_cmp_gt_i32_e32 vcc, 1, v17
	v_cndmask_b32_e32 v15, v16, v15, vcc
	v_and_b32_e32 v16, 7, v15
	v_cmp_lt_i32_e32 vcc, 5, v16
	v_cmp_eq_u32_e64 s[2:3], 3, v16
	v_lshrrev_b32_e32 v15, 2, v15
	s_or_b64 vcc, s[2:3], vcc
	v_addc_co_u32_e32 v15, vcc, 0, v15, vcc
	v_cmp_gt_i32_e32 vcc, 31, v17
	v_lshrrev_b32_e32 v19, 16, v10
	v_cndmask_b32_e32 v18, v2, v15, vcc
	v_mul_f16_sdwa v15, v88, v19 dst_sel:DWORD dst_unused:UNUSED_PAD src0_sel:WORD_1 src1_sel:DWORD
	v_fma_f16 v15, v88, v10, v15
	v_cvt_f32_f16_e32 v15, v15
	v_cmp_ne_u32_e32 vcc, 0, v13
	v_cndmask_b32_e64 v13, 0, 1, vcc
	v_lshl_or_b32 v13, v13, 9, v2
	v_cvt_f64_f32_e32 v[15:16], v15
	v_cmp_eq_u32_e32 vcc, s11, v17
	v_cndmask_b32_e32 v13, v18, v13, vcc
	v_lshrrev_b32_e32 v14, 16, v14
	v_and_or_b32 v17, v14, s14, v13
	v_mul_f64 v[13:14], v[15:16], s[12:13]
	v_and_b32_e32 v9, 0xffff, v9
	v_add_co_u32_e32 v11, vcc, s4, v11
	v_lshl_or_b32 v9, v17, 16, v9
	v_addc_co_u32_e32 v12, vcc, v12, v6, vcc
	global_store_dword v[11:12], v9, off
	v_and_or_b32 v9, v14, s15, v13
	v_cmp_ne_u32_e32 vcc, 0, v9
	v_cndmask_b32_e64 v9, 0, 1, vcc
	v_lshrrev_b32_e32 v13, 8, v14
	v_bfe_u32 v15, v14, 20, 11
	v_and_or_b32 v13, v13, s10, v9
	v_sub_u32_e32 v16, 0x3f1, v15
	v_or_b32_e32 v9, 0x1000, v13
	v_med3_i32 v16, v16, 0, 13
	v_lshrrev_b32_e32 v17, v16, v9
	v_lshlrev_b32_e32 v16, v16, v17
	v_mul_f16_sdwa v10, v88, v10 dst_sel:DWORD dst_unused:UNUSED_PAD src0_sel:WORD_1 src1_sel:DWORD
	v_cmp_ne_u32_e32 vcc, v16, v9
	v_fma_f16 v10, v88, v19, -v10
	v_cndmask_b32_e64 v9, 0, 1, vcc
	v_add_u32_e32 v15, 0xfffffc10, v15
	v_cvt_f32_f16_e32 v10, v10
	v_or_b32_e32 v9, v17, v9
	v_lshl_or_b32 v16, v15, 12, v13
	v_cmp_gt_i32_e32 vcc, 1, v15
	v_cndmask_b32_e32 v9, v16, v9, vcc
	v_and_b32_e32 v16, 7, v9
	v_cmp_lt_i32_e32 vcc, 5, v16
	v_cmp_eq_u32_e64 s[2:3], 3, v16
	v_lshrrev_b32_e32 v16, 2, v9
	v_cvt_f64_f32_e32 v[9:10], v10
	s_or_b64 vcc, s[2:3], vcc
	v_addc_co_u32_e32 v16, vcc, 0, v16, vcc
	v_mul_f64 v[9:10], v[9:10], s[12:13]
	v_cmp_gt_i32_e32 vcc, 31, v15
	v_cndmask_b32_e32 v16, v2, v16, vcc
	v_cmp_ne_u32_e32 vcc, 0, v13
	v_cndmask_b32_e64 v13, 0, 1, vcc
	v_lshl_or_b32 v13, v13, 9, v2
	v_cmp_eq_u32_e32 vcc, s11, v15
	v_cndmask_b32_e32 v13, v16, v13, vcc
	v_and_or_b32 v9, v10, s15, v9
	v_lshrrev_b32_e32 v14, 16, v14
	v_cmp_ne_u32_e32 vcc, 0, v9
	v_and_or_b32 v17, v14, s14, v13
	v_cndmask_b32_e64 v9, 0, 1, vcc
	v_lshrrev_b32_e32 v13, 8, v10
	v_bfe_u32 v14, v10, 20, 11
	v_and_or_b32 v9, v13, s10, v9
	v_sub_u32_e32 v15, 0x3f1, v14
	v_or_b32_e32 v13, 0x1000, v9
	v_med3_i32 v15, v15, 0, 13
	v_lshrrev_b32_e32 v16, v15, v13
	v_lshlrev_b32_e32 v15, v15, v16
	v_cmp_ne_u32_e32 vcc, v15, v13
	v_cndmask_b32_e64 v13, 0, 1, vcc
	v_add_u32_e32 v18, 0xfffffc10, v14
	v_or_b32_e32 v13, v16, v13
	v_lshl_or_b32 v14, v18, 12, v9
	v_cmp_gt_i32_e32 vcc, 1, v18
	v_cndmask_b32_e32 v13, v14, v13, vcc
	v_and_b32_e32 v14, 7, v13
	v_cmp_lt_i32_e32 vcc, 5, v14
	v_cmp_eq_u32_e64 s[2:3], 3, v14
	v_lshrrev_b32_e32 v15, 2, v13
	ds_read2_b32 v[13:14], v5 offset0:192 offset1:248
	s_or_b64 vcc, s[2:3], vcc
	v_addc_co_u32_e32 v5, vcc, 0, v15, vcc
	v_cmp_gt_i32_e32 vcc, 31, v18
	s_waitcnt lgkmcnt(0)
	v_lshrrev_b32_e32 v19, 16, v13
	v_mul_f16_sdwa v15, v84, v19 dst_sel:DWORD dst_unused:UNUSED_PAD src0_sel:WORD_1 src1_sel:DWORD
	v_fma_f16 v15, v84, v13, v15
	v_cvt_f32_f16_e32 v15, v15
	v_cndmask_b32_e32 v5, v2, v5, vcc
	v_cmp_ne_u32_e32 vcc, 0, v9
	v_cndmask_b32_e64 v9, 0, 1, vcc
	v_cvt_f64_f32_e32 v[15:16], v15
	v_lshl_or_b32 v9, v9, 9, v2
	v_cmp_eq_u32_e32 vcc, s11, v18
	v_cndmask_b32_e32 v5, v5, v9, vcc
	v_lshrrev_b32_e32 v9, 16, v10
	v_and_or_b32 v5, v9, s14, v5
	v_mul_f64 v[9:10], v[15:16], s[12:13]
	v_and_b32_e32 v15, 0xffff, v17
	v_add_co_u32_e32 v11, vcc, s6, v11
	v_lshl_or_b32 v5, v5, 16, v15
	v_addc_co_u32_e32 v12, vcc, v12, v3, vcc
	global_store_dword v[11:12], v5, off
	v_and_or_b32 v5, v10, s15, v9
	v_cmp_ne_u32_e32 vcc, 0, v5
	v_cndmask_b32_e64 v5, 0, 1, vcc
	v_lshrrev_b32_e32 v9, 8, v10
	v_bfe_u32 v15, v10, 20, 11
	v_and_or_b32 v5, v9, s10, v5
	v_sub_u32_e32 v16, 0x3f1, v15
	v_or_b32_e32 v9, 0x1000, v5
	v_med3_i32 v16, v16, 0, 13
	v_lshrrev_b32_e32 v17, v16, v9
	v_lshlrev_b32_e32 v16, v16, v17
	v_cmp_ne_u32_e32 vcc, v16, v9
	v_mul_f16_sdwa v13, v84, v13 dst_sel:DWORD dst_unused:UNUSED_PAD src0_sel:WORD_1 src1_sel:DWORD
	v_cndmask_b32_e64 v9, 0, 1, vcc
	v_fma_f16 v13, v84, v19, -v13
	v_or_b32_e32 v9, v17, v9
	v_add_u32_e32 v17, 0xfffffc10, v15
	v_cvt_f32_f16_e32 v13, v13
	v_lshl_or_b32 v15, v17, 12, v5
	v_cmp_gt_i32_e32 vcc, 1, v17
	v_cndmask_b32_e32 v9, v15, v9, vcc
	v_and_b32_e32 v15, 7, v9
	v_cmp_lt_i32_e32 vcc, 5, v15
	v_cmp_eq_u32_e64 s[2:3], 3, v15
	v_cvt_f64_f32_e32 v[15:16], v13
	v_lshrrev_b32_e32 v9, 2, v9
	s_or_b64 vcc, s[2:3], vcc
	v_addc_co_u32_e32 v9, vcc, 0, v9, vcc
	v_mul_f64 v[15:16], v[15:16], s[12:13]
	v_cmp_gt_i32_e32 vcc, 31, v17
	v_cndmask_b32_e32 v9, v2, v9, vcc
	v_cmp_ne_u32_e32 vcc, 0, v5
	v_cndmask_b32_e64 v5, 0, 1, vcc
	v_lshl_or_b32 v5, v5, 9, v2
	v_cmp_eq_u32_e32 vcc, s11, v17
	v_cndmask_b32_e32 v5, v9, v5, vcc
	v_lshrrev_b32_e32 v9, 16, v10
	v_and_or_b32 v13, v9, s14, v5
	v_and_or_b32 v5, v16, s15, v15
	v_cmp_ne_u32_e32 vcc, 0, v5
	v_cndmask_b32_e64 v5, 0, 1, vcc
	v_lshrrev_b32_e32 v9, 8, v16
	v_bfe_u32 v10, v16, 20, 11
	v_and_or_b32 v5, v9, s10, v5
	v_sub_u32_e32 v15, 0x3f1, v10
	v_or_b32_e32 v9, 0x1000, v5
	v_med3_i32 v15, v15, 0, 13
	v_lshrrev_b32_e32 v17, v15, v9
	v_lshlrev_b32_e32 v15, v15, v17
	v_cmp_ne_u32_e32 vcc, v15, v9
	v_cndmask_b32_e64 v9, 0, 1, vcc
	v_add_u32_e32 v15, 0xfffffc10, v10
	v_or_b32_e32 v9, v17, v9
	v_lshl_or_b32 v10, v15, 12, v5
	v_cmp_gt_i32_e32 vcc, 1, v15
	v_cndmask_b32_e32 v9, v10, v9, vcc
	v_and_b32_e32 v10, 7, v9
	v_cmp_lt_i32_e32 vcc, 5, v10
	v_cmp_eq_u32_e64 s[2:3], 3, v10
	v_lshrrev_b32_e32 v9, 2, v9
	s_or_b64 vcc, s[2:3], vcc
	v_addc_co_u32_e32 v9, vcc, 0, v9, vcc
	v_cmp_gt_i32_e32 vcc, 31, v15
	v_cndmask_b32_e32 v17, v2, v9, vcc
	v_cmp_ne_u32_e32 vcc, 0, v5
	ds_read2_b32 v[4:5], v4 offset0:124 offset1:180
	v_cndmask_b32_e64 v18, 0, 1, vcc
	v_cmp_eq_u32_e32 vcc, s11, v15
	v_mad_u64_u32 v[9:10], s[2:3], s8, v86, 0
	s_waitcnt lgkmcnt(0)
	v_lshrrev_b32_e32 v20, 16, v4
	v_mul_f16_sdwa v15, v85, v20 dst_sel:DWORD dst_unused:UNUSED_PAD src0_sel:WORD_1 src1_sel:DWORD
	v_fma_f16 v15, v85, v4, v15
	v_cvt_f32_f16_e32 v15, v15
	v_lshl_or_b32 v18, v18, 9, v2
	v_cndmask_b32_e32 v19, v17, v18, vcc
	v_mad_u64_u32 v[17:18], s[2:3], s9, v86, v[10:11]
	v_lshrrev_b32_e32 v10, 16, v16
	v_cvt_f64_f32_e32 v[15:16], v15
	v_and_or_b32 v18, v10, s14, v19
	v_mov_b32_e32 v10, v17
	v_lshlrev_b64 v[9:10], 2, v[9:10]
	v_mul_f64 v[15:16], v[15:16], s[12:13]
	v_and_b32_e32 v13, 0xffff, v13
	v_add_co_u32_e32 v7, vcc, v7, v9
	v_lshl_or_b32 v13, v18, 16, v13
	v_addc_co_u32_e32 v8, vcc, v8, v10, vcc
	global_store_dword v[7:8], v13, off
	v_and_or_b32 v7, v16, s15, v15
	v_cmp_ne_u32_e32 vcc, 0, v7
	v_cndmask_b32_e64 v7, 0, 1, vcc
	v_lshrrev_b32_e32 v8, 8, v16
	v_and_or_b32 v9, v8, s10, v7
	v_bfe_u32 v8, v16, 20, 11
	v_sub_u32_e32 v10, 0x3f1, v8
	v_or_b32_e32 v7, 0x1000, v9
	v_med3_i32 v10, v10, 0, 13
	v_lshrrev_b32_e32 v13, v10, v7
	v_lshlrev_b32_e32 v10, v10, v13
	v_mul_f16_sdwa v4, v85, v4 dst_sel:DWORD dst_unused:UNUSED_PAD src0_sel:WORD_1 src1_sel:DWORD
	v_cmp_ne_u32_e32 vcc, v10, v7
	v_fma_f16 v4, v85, v20, -v4
	v_cndmask_b32_e64 v7, 0, 1, vcc
	v_add_u32_e32 v10, 0xfffffc10, v8
	v_cvt_f32_f16_e32 v4, v4
	v_or_b32_e32 v7, v13, v7
	v_lshl_or_b32 v8, v10, 12, v9
	v_cmp_gt_i32_e32 vcc, 1, v10
	v_cndmask_b32_e32 v7, v8, v7, vcc
	v_and_b32_e32 v8, 7, v7
	v_cmp_lt_i32_e32 vcc, 5, v8
	v_cmp_eq_u32_e64 s[2:3], 3, v8
	v_lshrrev_b32_e32 v13, 2, v7
	v_cvt_f64_f32_e32 v[7:8], v4
	s_or_b64 vcc, s[2:3], vcc
	v_addc_co_u32_e32 v4, vcc, 0, v13, vcc
	v_mul_f64 v[7:8], v[7:8], s[12:13]
	v_cmp_gt_i32_e32 vcc, 31, v10
	v_cndmask_b32_e32 v4, v2, v4, vcc
	v_cmp_ne_u32_e32 vcc, 0, v9
	v_cndmask_b32_e64 v9, 0, 1, vcc
	v_lshl_or_b32 v9, v9, 9, v2
	v_cmp_eq_u32_e32 vcc, s11, v10
	v_cndmask_b32_e32 v4, v4, v9, vcc
	v_and_or_b32 v7, v8, s15, v7
	v_lshrrev_b32_e32 v9, 16, v16
	v_cmp_ne_u32_e32 vcc, 0, v7
	v_and_or_b32 v4, v9, s14, v4
	v_cndmask_b32_e64 v7, 0, 1, vcc
	v_lshrrev_b32_e32 v9, 8, v8
	v_bfe_u32 v10, v8, 20, 11
	v_and_or_b32 v7, v9, s10, v7
	v_sub_u32_e32 v13, 0x3f1, v10
	v_or_b32_e32 v9, 0x1000, v7
	v_med3_i32 v13, v13, 0, 13
	v_lshrrev_b32_e32 v15, v13, v9
	v_lshlrev_b32_e32 v13, v13, v15
	v_cmp_ne_u32_e32 vcc, v13, v9
	v_cndmask_b32_e64 v9, 0, 1, vcc
	v_add_u32_e32 v10, 0xfffffc10, v10
	v_or_b32_e32 v9, v15, v9
	v_lshl_or_b32 v13, v10, 12, v7
	v_cmp_gt_i32_e32 vcc, 1, v10
	v_cndmask_b32_e32 v9, v13, v9, vcc
	v_and_b32_e32 v13, 7, v9
	v_cmp_lt_i32_e32 vcc, 5, v13
	v_cmp_eq_u32_e64 s[2:3], 3, v13
	v_lshrrev_b32_e32 v13, 16, v14
	v_lshrrev_b32_e32 v9, 2, v9
	s_or_b64 vcc, s[2:3], vcc
	v_mul_f16_sdwa v15, v82, v13 dst_sel:DWORD dst_unused:UNUSED_PAD src0_sel:WORD_1 src1_sel:DWORD
	v_addc_co_u32_e32 v9, vcc, 0, v9, vcc
	v_fma_f16 v15, v82, v14, v15
	v_cmp_gt_i32_e32 vcc, 31, v10
	v_cvt_f32_f16_e32 v15, v15
	v_cndmask_b32_e32 v9, v2, v9, vcc
	v_cmp_ne_u32_e32 vcc, 0, v7
	v_cndmask_b32_e64 v7, 0, 1, vcc
	v_lshl_or_b32 v7, v7, 9, v2
	v_cmp_eq_u32_e32 vcc, s11, v10
	v_cndmask_b32_e32 v7, v9, v7, vcc
	v_cvt_f64_f32_e32 v[9:10], v15
	v_lshrrev_b32_e32 v8, 16, v8
	v_and_or_b32 v15, v8, s14, v7
	v_mov_b32_e32 v16, 0xe0
	v_mul_f64 v[7:8], v[9:10], s[12:13]
	v_mad_u64_u32 v[9:10], s[2:3], s8, v16, v[11:12]
	v_and_b32_e32 v4, 0xffff, v4
	s_mul_i32 s2, s9, 0xe0
	v_lshl_or_b32 v4, v15, 16, v4
	v_add_u32_e32 v10, s2, v10
	global_store_dword v[9:10], v4, off
	v_and_or_b32 v4, v8, s15, v7
	v_cmp_ne_u32_e32 vcc, 0, v4
	v_cndmask_b32_e64 v4, 0, 1, vcc
	v_lshrrev_b32_e32 v7, 8, v8
	v_bfe_u32 v11, v8, 20, 11
	v_and_or_b32 v4, v7, s10, v4
	v_sub_u32_e32 v12, 0x3f1, v11
	v_or_b32_e32 v7, 0x1000, v4
	v_med3_i32 v12, v12, 0, 13
	v_lshrrev_b32_e32 v15, v12, v7
	v_lshlrev_b32_e32 v12, v12, v15
	v_cmp_ne_u32_e32 vcc, v12, v7
	v_mul_f16_sdwa v12, v82, v14 dst_sel:DWORD dst_unused:UNUSED_PAD src0_sel:WORD_1 src1_sel:DWORD
	v_cndmask_b32_e64 v7, 0, 1, vcc
	v_fma_f16 v12, v82, v13, -v12
	v_or_b32_e32 v7, v15, v7
	v_add_u32_e32 v15, 0xfffffc10, v11
	v_cvt_f32_f16_e32 v12, v12
	v_lshl_or_b32 v11, v15, 12, v4
	v_cmp_gt_i32_e32 vcc, 1, v15
	v_cndmask_b32_e32 v7, v11, v7, vcc
	v_and_b32_e32 v11, 7, v7
	v_cmp_lt_i32_e32 vcc, 5, v11
	v_cmp_eq_u32_e64 s[2:3], 3, v11
	v_cvt_f64_f32_e32 v[11:12], v12
	v_lshrrev_b32_e32 v7, 2, v7
	s_or_b64 vcc, s[2:3], vcc
	v_addc_co_u32_e32 v7, vcc, 0, v7, vcc
	v_mul_f64 v[11:12], v[11:12], s[12:13]
	v_cmp_gt_i32_e32 vcc, 31, v15
	v_cndmask_b32_e32 v7, v2, v7, vcc
	v_cmp_ne_u32_e32 vcc, 0, v4
	v_cndmask_b32_e64 v4, 0, 1, vcc
	v_lshl_or_b32 v4, v4, 9, v2
	v_cmp_eq_u32_e32 vcc, s11, v15
	v_cndmask_b32_e32 v4, v7, v4, vcc
	v_lshrrev_b32_e32 v7, 16, v8
	v_and_or_b32 v4, v7, s14, v4
	v_and_or_b32 v7, v12, s15, v11
	v_cmp_ne_u32_e32 vcc, 0, v7
	v_cndmask_b32_e64 v7, 0, 1, vcc
	v_lshrrev_b32_e32 v8, 8, v12
	v_bfe_u32 v11, v12, 20, 11
	v_and_or_b32 v7, v8, s10, v7
	v_sub_u32_e32 v13, 0x3f1, v11
	v_or_b32_e32 v8, 0x1000, v7
	v_med3_i32 v13, v13, 0, 13
	v_lshrrev_b32_e32 v14, v13, v8
	v_lshlrev_b32_e32 v13, v13, v14
	v_cmp_ne_u32_e32 vcc, v13, v8
	v_cndmask_b32_e64 v8, 0, 1, vcc
	v_add_u32_e32 v11, 0xfffffc10, v11
	v_or_b32_e32 v8, v14, v8
	v_lshl_or_b32 v13, v11, 12, v7
	v_cmp_gt_i32_e32 vcc, 1, v11
	v_cndmask_b32_e32 v8, v13, v8, vcc
	v_and_b32_e32 v13, 7, v8
	v_cmp_lt_i32_e32 vcc, 5, v13
	v_cmp_eq_u32_e64 s[2:3], 3, v13
	v_lshrrev_b32_e32 v8, 2, v8
	s_or_b64 vcc, s[2:3], vcc
	v_addc_co_u32_e32 v8, vcc, 0, v8, vcc
	v_cmp_gt_i32_e32 vcc, 31, v11
	v_lshrrev_b32_e32 v14, 16, v5
	v_cndmask_b32_e32 v13, v2, v8, vcc
	v_mul_f16_sdwa v8, v83, v14 dst_sel:DWORD dst_unused:UNUSED_PAD src0_sel:WORD_1 src1_sel:DWORD
	v_fma_f16 v8, v83, v5, v8
	v_cvt_f32_f16_e32 v8, v8
	v_cmp_ne_u32_e32 vcc, 0, v7
	v_cndmask_b32_e64 v7, 0, 1, vcc
	v_lshl_or_b32 v15, v7, 9, v2
	v_cvt_f64_f32_e32 v[7:8], v8
	v_cmp_eq_u32_e32 vcc, s11, v11
	v_cndmask_b32_e32 v11, v13, v15, vcc
	v_lshrrev_b32_e32 v12, 16, v12
	v_mul_f64 v[7:8], v[7:8], s[12:13]
	v_and_or_b32 v11, v12, s14, v11
	v_and_b32_e32 v4, 0xffff, v4
	v_add_co_u32_e32 v9, vcc, s4, v9
	v_lshl_or_b32 v4, v11, 16, v4
	v_addc_co_u32_e32 v10, vcc, v10, v6, vcc
	global_store_dword v[9:10], v4, off
	v_and_or_b32 v4, v8, s15, v7
	v_cmp_ne_u32_e32 vcc, 0, v4
	v_cndmask_b32_e64 v4, 0, 1, vcc
	v_lshrrev_b32_e32 v7, 8, v8
	v_bfe_u32 v11, v8, 20, 11
	v_and_or_b32 v7, v7, s10, v4
	v_sub_u32_e32 v12, 0x3f1, v11
	v_or_b32_e32 v4, 0x1000, v7
	v_med3_i32 v12, v12, 0, 13
	v_lshrrev_b32_e32 v13, v12, v4
	v_lshlrev_b32_e32 v12, v12, v13
	v_mul_f16_sdwa v5, v83, v5 dst_sel:DWORD dst_unused:UNUSED_PAD src0_sel:WORD_1 src1_sel:DWORD
	v_cmp_ne_u32_e32 vcc, v12, v4
	v_fma_f16 v5, v83, v14, -v5
	v_cndmask_b32_e64 v4, 0, 1, vcc
	v_add_u32_e32 v11, 0xfffffc10, v11
	v_cvt_f32_f16_e32 v5, v5
	v_or_b32_e32 v4, v13, v4
	v_lshl_or_b32 v12, v11, 12, v7
	v_cmp_gt_i32_e32 vcc, 1, v11
	v_cndmask_b32_e32 v4, v12, v4, vcc
	v_and_b32_e32 v12, 7, v4
	v_cmp_lt_i32_e32 vcc, 5, v12
	v_cmp_eq_u32_e64 s[2:3], 3, v12
	v_lshrrev_b32_e32 v12, 2, v4
	v_cvt_f64_f32_e32 v[4:5], v5
	s_or_b64 vcc, s[2:3], vcc
	v_addc_co_u32_e32 v12, vcc, 0, v12, vcc
	v_mul_f64 v[4:5], v[4:5], s[12:13]
	v_cmp_gt_i32_e32 vcc, 31, v11
	v_cndmask_b32_e32 v12, v2, v12, vcc
	v_cmp_ne_u32_e32 vcc, 0, v7
	v_cndmask_b32_e64 v7, 0, 1, vcc
	v_lshl_or_b32 v7, v7, 9, v2
	v_cmp_eq_u32_e32 vcc, s11, v11
	v_cndmask_b32_e32 v7, v12, v7, vcc
	v_and_or_b32 v4, v5, s15, v4
	v_lshrrev_b32_e32 v8, 16, v8
	v_cmp_ne_u32_e32 vcc, 0, v4
	v_and_or_b32 v13, v8, s14, v7
	v_cndmask_b32_e64 v4, 0, 1, vcc
	v_lshrrev_b32_e32 v7, 8, v5
	v_bfe_u32 v8, v5, 20, 11
	v_and_or_b32 v4, v7, s10, v4
	v_sub_u32_e32 v11, 0x3f1, v8
	v_or_b32_e32 v7, 0x1000, v4
	v_med3_i32 v11, v11, 0, 13
	v_lshrrev_b32_e32 v12, v11, v7
	v_lshlrev_b32_e32 v11, v11, v12
	v_cmp_ne_u32_e32 vcc, v11, v7
	v_cndmask_b32_e64 v7, 0, 1, vcc
	v_add_u32_e32 v14, 0xfffffc10, v8
	v_or_b32_e32 v7, v12, v7
	v_lshl_or_b32 v8, v14, 12, v4
	v_cmp_gt_i32_e32 vcc, 1, v14
	v_cndmask_b32_e32 v7, v8, v7, vcc
	v_and_b32_e32 v8, 7, v7
	v_cmp_lt_i32_e32 vcc, 5, v8
	v_cmp_eq_u32_e64 s[2:3], 3, v8
	v_lshrrev_b32_e32 v11, 2, v7
	ds_read2_b32 v[7:8], v1 offset0:48 offset1:104
	s_or_b64 vcc, s[2:3], vcc
	v_addc_co_u32_e32 v1, vcc, 0, v11, vcc
	v_cmp_gt_i32_e32 vcc, 31, v14
	s_waitcnt lgkmcnt(0)
	v_lshrrev_b32_e32 v15, 16, v7
	v_mul_f16_sdwa v11, v80, v15 dst_sel:DWORD dst_unused:UNUSED_PAD src0_sel:WORD_1 src1_sel:DWORD
	v_fma_f16 v11, v80, v7, v11
	v_cvt_f32_f16_e32 v11, v11
	v_cndmask_b32_e32 v1, v2, v1, vcc
	v_cmp_ne_u32_e32 vcc, 0, v4
	v_cndmask_b32_e64 v4, 0, 1, vcc
	v_cvt_f64_f32_e32 v[11:12], v11
	v_lshl_or_b32 v4, v4, 9, v2
	v_cmp_eq_u32_e32 vcc, s11, v14
	v_cndmask_b32_e32 v1, v1, v4, vcc
	v_lshrrev_b32_e32 v4, 16, v5
	v_and_or_b32 v1, v4, s14, v1
	v_mul_f64 v[4:5], v[11:12], s[12:13]
	v_and_b32_e32 v11, 0xffff, v13
	v_add_co_u32_e32 v9, vcc, s6, v9
	v_lshl_or_b32 v1, v1, 16, v11
	v_addc_co_u32_e32 v10, vcc, v10, v3, vcc
	global_store_dword v[9:10], v1, off
	v_and_or_b32 v1, v5, s15, v4
	v_cmp_ne_u32_e32 vcc, 0, v1
	v_cndmask_b32_e64 v1, 0, 1, vcc
	v_lshrrev_b32_e32 v4, 8, v5
	v_bfe_u32 v11, v5, 20, 11
	v_and_or_b32 v1, v4, s10, v1
	v_sub_u32_e32 v12, 0x3f1, v11
	v_or_b32_e32 v4, 0x1000, v1
	v_med3_i32 v12, v12, 0, 13
	v_lshrrev_b32_e32 v13, v12, v4
	v_lshlrev_b32_e32 v12, v12, v13
	v_cmp_ne_u32_e32 vcc, v12, v4
	v_mul_f16_sdwa v7, v80, v7 dst_sel:DWORD dst_unused:UNUSED_PAD src0_sel:WORD_1 src1_sel:DWORD
	v_cndmask_b32_e64 v4, 0, 1, vcc
	v_fma_f16 v7, v80, v15, -v7
	v_or_b32_e32 v4, v13, v4
	v_add_u32_e32 v13, 0xfffffc10, v11
	v_cvt_f32_f16_e32 v7, v7
	v_lshl_or_b32 v11, v13, 12, v1
	v_cmp_gt_i32_e32 vcc, 1, v13
	v_cndmask_b32_e32 v4, v11, v4, vcc
	v_and_b32_e32 v11, 7, v4
	v_cmp_lt_i32_e32 vcc, 5, v11
	v_cmp_eq_u32_e64 s[2:3], 3, v11
	v_cvt_f64_f32_e32 v[11:12], v7
	v_lshrrev_b32_e32 v4, 2, v4
	s_or_b64 vcc, s[2:3], vcc
	v_addc_co_u32_e32 v4, vcc, 0, v4, vcc
	v_mul_f64 v[11:12], v[11:12], s[12:13]
	v_cmp_gt_i32_e32 vcc, 31, v13
	v_cndmask_b32_e32 v4, v2, v4, vcc
	v_cmp_ne_u32_e32 vcc, 0, v1
	v_cndmask_b32_e64 v1, 0, 1, vcc
	v_lshl_or_b32 v1, v1, 9, v2
	v_cmp_eq_u32_e32 vcc, s11, v13
	v_cndmask_b32_e32 v1, v4, v1, vcc
	v_lshrrev_b32_e32 v4, 16, v5
	v_and_or_b32 v7, v4, s14, v1
	v_and_or_b32 v1, v12, s15, v11
	v_cmp_ne_u32_e32 vcc, 0, v1
	v_cndmask_b32_e64 v1, 0, 1, vcc
	v_lshrrev_b32_e32 v4, 8, v12
	v_bfe_u32 v5, v12, 20, 11
	v_and_or_b32 v4, v4, s10, v1
	v_sub_u32_e32 v11, 0x3f1, v5
	v_or_b32_e32 v1, 0x1000, v4
	v_med3_i32 v11, v11, 0, 13
	v_lshrrev_b32_e32 v13, v11, v1
	v_lshlrev_b32_e32 v11, v11, v13
	v_cmp_ne_u32_e32 vcc, v11, v1
	v_cndmask_b32_e64 v1, 0, 1, vcc
	v_add_u32_e32 v11, 0xfffffc10, v5
	v_or_b32_e32 v1, v13, v1
	v_lshl_or_b32 v5, v11, 12, v4
	v_cmp_gt_i32_e32 vcc, 1, v11
	v_cndmask_b32_e32 v1, v5, v1, vcc
	v_and_b32_e32 v5, 7, v1
	v_cmp_lt_i32_e32 vcc, 5, v5
	v_cmp_eq_u32_e64 s[2:3], 3, v5
	v_lshrrev_b32_e32 v5, 2, v1
	ds_read2_b32 v[0:1], v0 offset0:108 offset1:164
	s_or_b64 vcc, s[2:3], vcc
	v_addc_co_u32_e32 v5, vcc, 0, v5, vcc
	v_cmp_gt_i32_e32 vcc, 31, v11
	s_waitcnt lgkmcnt(0)
	v_lshrrev_b32_e32 v14, 16, v0
	v_cndmask_b32_e32 v13, v2, v5, vcc
	v_mul_f16_sdwa v5, v81, v14 dst_sel:DWORD dst_unused:UNUSED_PAD src0_sel:WORD_1 src1_sel:DWORD
	v_fma_f16 v5, v81, v0, v5
	v_cvt_f32_f16_e32 v5, v5
	v_cmp_ne_u32_e32 vcc, 0, v4
	v_cndmask_b32_e64 v4, 0, 1, vcc
	v_lshl_or_b32 v15, v4, 9, v2
	v_cvt_f64_f32_e32 v[4:5], v5
	v_cmp_eq_u32_e32 vcc, s11, v11
	v_cndmask_b32_e32 v11, v13, v15, vcc
	v_lshrrev_b32_e32 v12, 16, v12
	v_mul_f64 v[4:5], v[4:5], s[12:13]
	v_add_co_u32_e32 v9, vcc, s4, v9
	v_and_or_b32 v11, v12, s14, v11
	v_and_b32_e32 v7, 0xffff, v7
	v_addc_co_u32_e32 v10, vcc, v10, v6, vcc
	v_lshl_or_b32 v7, v11, 16, v7
	v_and_or_b32 v4, v5, s15, v4
	v_cmp_ne_u32_e32 vcc, 0, v4
	global_store_dword v[9:10], v7, off
	v_cndmask_b32_e64 v4, 0, 1, vcc
	v_lshrrev_b32_e32 v7, 8, v5
	v_bfe_u32 v11, v5, 20, 11
	v_and_or_b32 v4, v7, s10, v4
	v_sub_u32_e32 v12, 0x3f1, v11
	v_or_b32_e32 v7, 0x1000, v4
	v_med3_i32 v12, v12, 0, 13
	v_lshrrev_b32_e32 v13, v12, v7
	v_lshlrev_b32_e32 v12, v12, v13
	v_cmp_ne_u32_e32 vcc, v12, v7
	v_mul_f16_sdwa v0, v81, v0 dst_sel:DWORD dst_unused:UNUSED_PAD src0_sel:WORD_1 src1_sel:DWORD
	v_cndmask_b32_e64 v7, 0, 1, vcc
	v_fma_f16 v0, v81, v14, -v0
	v_or_b32_e32 v7, v13, v7
	v_add_u32_e32 v13, 0xfffffc10, v11
	v_cvt_f32_f16_e32 v0, v0
	v_lshl_or_b32 v11, v13, 12, v4
	v_cmp_gt_i32_e32 vcc, 1, v13
	v_cndmask_b32_e32 v7, v11, v7, vcc
	v_and_b32_e32 v11, 7, v7
	v_cmp_lt_i32_e32 vcc, 5, v11
	v_cmp_eq_u32_e64 s[2:3], 3, v11
	v_cvt_f64_f32_e32 v[11:12], v0
	v_lshrrev_b32_e32 v7, 2, v7
	s_or_b64 vcc, s[2:3], vcc
	v_addc_co_u32_e32 v0, vcc, 0, v7, vcc
	v_mul_f64 v[11:12], v[11:12], s[12:13]
	v_cmp_gt_i32_e32 vcc, 31, v13
	v_cndmask_b32_e32 v0, v2, v0, vcc
	v_cmp_ne_u32_e32 vcc, 0, v4
	v_cndmask_b32_e64 v4, 0, 1, vcc
	v_lshl_or_b32 v4, v4, 9, v2
	v_cmp_eq_u32_e32 vcc, s11, v13
	v_cndmask_b32_e32 v0, v0, v4, vcc
	v_lshrrev_b32_e32 v4, 16, v5
	v_and_or_b32 v0, v4, s14, v0
	v_and_or_b32 v4, v12, s15, v11
	v_cmp_ne_u32_e32 vcc, 0, v4
	v_cndmask_b32_e64 v4, 0, 1, vcc
	v_lshrrev_b32_e32 v5, 8, v12
	v_bfe_u32 v7, v12, 20, 11
	v_and_or_b32 v4, v5, s10, v4
	v_sub_u32_e32 v11, 0x3f1, v7
	v_or_b32_e32 v5, 0x1000, v4
	v_med3_i32 v11, v11, 0, 13
	v_lshrrev_b32_e32 v13, v11, v5
	v_lshlrev_b32_e32 v11, v11, v13
	v_cmp_ne_u32_e32 vcc, v11, v5
	v_cndmask_b32_e64 v5, 0, 1, vcc
	v_add_u32_e32 v7, 0xfffffc10, v7
	v_or_b32_e32 v5, v13, v5
	v_lshl_or_b32 v11, v7, 12, v4
	v_cmp_gt_i32_e32 vcc, 1, v7
	v_cndmask_b32_e32 v5, v11, v5, vcc
	v_and_b32_e32 v11, 7, v5
	v_cmp_lt_i32_e32 vcc, 5, v11
	v_cmp_eq_u32_e64 s[2:3], 3, v11
	v_lshrrev_b32_e32 v5, 2, v5
	s_or_b64 vcc, s[2:3], vcc
	v_addc_co_u32_e32 v5, vcc, 0, v5, vcc
	v_cmp_gt_i32_e32 vcc, 31, v7
	v_lshrrev_b32_e32 v13, 16, v8
	v_cndmask_b32_e32 v11, v2, v5, vcc
	v_mul_f16_sdwa v5, v78, v13 dst_sel:DWORD dst_unused:UNUSED_PAD src0_sel:WORD_1 src1_sel:DWORD
	v_fma_f16 v5, v78, v8, v5
	v_cvt_f32_f16_e32 v5, v5
	v_cmp_ne_u32_e32 vcc, 0, v4
	v_cndmask_b32_e64 v4, 0, 1, vcc
	v_lshl_or_b32 v14, v4, 9, v2
	v_cvt_f64_f32_e32 v[4:5], v5
	v_cmp_eq_u32_e32 vcc, s11, v7
	v_cndmask_b32_e32 v7, v11, v14, vcc
	v_lshrrev_b32_e32 v11, 16, v12
	v_mul_f64 v[4:5], v[4:5], s[12:13]
	v_and_or_b32 v7, v11, s14, v7
	v_and_b32_e32 v0, 0xffff, v0
	v_add_co_u32_e32 v9, vcc, s6, v9
	v_lshl_or_b32 v0, v7, 16, v0
	v_addc_co_u32_e32 v10, vcc, v10, v3, vcc
	global_store_dword v[9:10], v0, off
	v_and_or_b32 v0, v5, s15, v4
	v_cmp_ne_u32_e32 vcc, 0, v0
	v_cndmask_b32_e64 v0, 0, 1, vcc
	v_lshrrev_b32_e32 v4, 8, v5
	v_bfe_u32 v7, v5, 20, 11
	v_and_or_b32 v0, v4, s10, v0
	v_sub_u32_e32 v11, 0x3f1, v7
	v_or_b32_e32 v4, 0x1000, v0
	v_med3_i32 v11, v11, 0, 13
	v_lshrrev_b32_e32 v12, v11, v4
	v_lshlrev_b32_e32 v11, v11, v12
	v_mul_f16_sdwa v8, v78, v8 dst_sel:DWORD dst_unused:UNUSED_PAD src0_sel:WORD_1 src1_sel:DWORD
	v_cmp_ne_u32_e32 vcc, v11, v4
	v_fma_f16 v8, v78, v13, -v8
	v_cndmask_b32_e64 v4, 0, 1, vcc
	v_add_u32_e32 v11, 0xfffffc10, v7
	v_cvt_f32_f16_e32 v8, v8
	v_or_b32_e32 v4, v12, v4
	v_lshl_or_b32 v7, v11, 12, v0
	v_cmp_gt_i32_e32 vcc, 1, v11
	v_cndmask_b32_e32 v4, v7, v4, vcc
	v_and_b32_e32 v7, 7, v4
	v_cmp_lt_i32_e32 vcc, 5, v7
	v_cmp_eq_u32_e64 s[2:3], 3, v7
	v_cvt_f64_f32_e32 v[7:8], v8
	v_lshrrev_b32_e32 v4, 2, v4
	s_or_b64 vcc, s[2:3], vcc
	v_addc_co_u32_e32 v4, vcc, 0, v4, vcc
	v_mul_f64 v[7:8], v[7:8], s[12:13]
	v_cmp_gt_i32_e32 vcc, 31, v11
	v_cndmask_b32_e32 v4, v2, v4, vcc
	v_cmp_ne_u32_e32 vcc, 0, v0
	v_cndmask_b32_e64 v0, 0, 1, vcc
	v_lshl_or_b32 v0, v0, 9, v2
	v_cmp_eq_u32_e32 vcc, s11, v11
	v_cndmask_b32_e32 v0, v4, v0, vcc
	v_lshrrev_b32_e32 v4, 16, v5
	v_and_or_b32 v0, v4, s14, v0
	v_and_or_b32 v4, v8, s15, v7
	v_cmp_ne_u32_e32 vcc, 0, v4
	v_cndmask_b32_e64 v4, 0, 1, vcc
	v_lshrrev_b32_e32 v5, 8, v8
	v_bfe_u32 v7, v8, 20, 11
	v_and_or_b32 v4, v5, s10, v4
	v_sub_u32_e32 v11, 0x3f1, v7
	v_or_b32_e32 v5, 0x1000, v4
	v_med3_i32 v11, v11, 0, 13
	v_lshrrev_b32_e32 v12, v11, v5
	v_lshlrev_b32_e32 v11, v11, v12
	v_cmp_ne_u32_e32 vcc, v11, v5
	v_cndmask_b32_e64 v5, 0, 1, vcc
	v_add_u32_e32 v7, 0xfffffc10, v7
	v_or_b32_e32 v5, v12, v5
	v_lshl_or_b32 v11, v7, 12, v4
	v_cmp_gt_i32_e32 vcc, 1, v7
	v_cndmask_b32_e32 v5, v11, v5, vcc
	v_and_b32_e32 v11, 7, v5
	v_cmp_lt_i32_e32 vcc, 5, v11
	v_cmp_eq_u32_e64 s[2:3], 3, v11
	v_lshrrev_b32_e32 v5, 2, v5
	s_or_b64 vcc, s[2:3], vcc
	v_addc_co_u32_e32 v5, vcc, 0, v5, vcc
	v_cmp_gt_i32_e32 vcc, 31, v7
	v_lshrrev_b32_e32 v12, 16, v1
	v_cndmask_b32_e32 v11, v2, v5, vcc
	v_mul_f16_sdwa v5, v79, v12 dst_sel:DWORD dst_unused:UNUSED_PAD src0_sel:WORD_1 src1_sel:DWORD
	v_fma_f16 v5, v79, v1, v5
	v_cvt_f32_f16_e32 v5, v5
	v_cmp_ne_u32_e32 vcc, 0, v4
	v_cndmask_b32_e64 v4, 0, 1, vcc
	v_lshl_or_b32 v13, v4, 9, v2
	v_cvt_f64_f32_e32 v[4:5], v5
	v_cmp_eq_u32_e32 vcc, s11, v7
	v_cndmask_b32_e32 v7, v11, v13, vcc
	v_lshrrev_b32_e32 v8, 16, v8
	v_mul_f64 v[4:5], v[4:5], s[12:13]
	v_and_or_b32 v7, v8, s14, v7
	v_and_b32_e32 v0, 0xffff, v0
	v_lshl_or_b32 v0, v7, 16, v0
	v_add_co_u32_e32 v7, vcc, s4, v9
	v_addc_co_u32_e32 v8, vcc, v10, v6, vcc
	global_store_dword v[7:8], v0, off
	v_and_or_b32 v0, v5, s15, v4
	v_cmp_ne_u32_e32 vcc, 0, v0
	v_cndmask_b32_e64 v0, 0, 1, vcc
	v_lshrrev_b32_e32 v4, 8, v5
	v_bfe_u32 v6, v5, 20, 11
	v_and_or_b32 v4, v4, s10, v0
	v_sub_u32_e32 v9, 0x3f1, v6
	v_or_b32_e32 v0, 0x1000, v4
	v_med3_i32 v9, v9, 0, 13
	v_lshrrev_b32_e32 v10, v9, v0
	v_lshlrev_b32_e32 v9, v9, v10
	v_mul_f16_sdwa v1, v79, v1 dst_sel:DWORD dst_unused:UNUSED_PAD src0_sel:WORD_1 src1_sel:DWORD
	v_cmp_ne_u32_e32 vcc, v9, v0
	v_fma_f16 v1, v79, v12, -v1
	v_cndmask_b32_e64 v0, 0, 1, vcc
	v_add_u32_e32 v6, 0xfffffc10, v6
	v_cvt_f32_f16_e32 v1, v1
	v_or_b32_e32 v0, v10, v0
	v_lshl_or_b32 v9, v6, 12, v4
	v_cmp_gt_i32_e32 vcc, 1, v6
	v_cndmask_b32_e32 v0, v9, v0, vcc
	v_and_b32_e32 v9, 7, v0
	v_cmp_lt_i32_e32 vcc, 5, v9
	v_cmp_eq_u32_e64 s[2:3], 3, v9
	v_lshrrev_b32_e32 v9, 2, v0
	v_cvt_f64_f32_e32 v[0:1], v1
	s_or_b64 vcc, s[2:3], vcc
	v_addc_co_u32_e32 v9, vcc, 0, v9, vcc
	v_mul_f64 v[0:1], v[0:1], s[12:13]
	v_cmp_gt_i32_e32 vcc, 31, v6
	v_cndmask_b32_e32 v9, v2, v9, vcc
	v_cmp_ne_u32_e32 vcc, 0, v4
	v_cndmask_b32_e64 v4, 0, 1, vcc
	v_lshl_or_b32 v4, v4, 9, v2
	v_cmp_eq_u32_e32 vcc, s11, v6
	v_cndmask_b32_e32 v4, v9, v4, vcc
	v_and_or_b32 v0, v1, s15, v0
	v_lshrrev_b32_e32 v5, 16, v5
	v_cmp_ne_u32_e32 vcc, 0, v0
	v_and_or_b32 v4, v5, s14, v4
	v_cndmask_b32_e64 v0, 0, 1, vcc
	v_lshrrev_b32_e32 v5, 8, v1
	v_bfe_u32 v6, v1, 20, 11
	v_and_or_b32 v0, v5, s10, v0
	v_sub_u32_e32 v9, 0x3f1, v6
	v_or_b32_e32 v5, 0x1000, v0
	v_med3_i32 v9, v9, 0, 13
	v_lshrrev_b32_e32 v10, v9, v5
	v_lshlrev_b32_e32 v9, v9, v10
	v_cmp_ne_u32_e32 vcc, v9, v5
	v_cndmask_b32_e64 v5, 0, 1, vcc
	v_add_u32_e32 v6, 0xfffffc10, v6
	v_or_b32_e32 v5, v10, v5
	v_lshl_or_b32 v9, v6, 12, v0
	v_cmp_gt_i32_e32 vcc, 1, v6
	v_cndmask_b32_e32 v5, v9, v5, vcc
	v_and_b32_e32 v9, 7, v5
	v_cmp_lt_i32_e32 vcc, 5, v9
	v_cmp_eq_u32_e64 s[2:3], 3, v9
	v_lshrrev_b32_e32 v5, 2, v5
	s_or_b64 vcc, s[2:3], vcc
	v_addc_co_u32_e32 v5, vcc, 0, v5, vcc
	v_cmp_gt_i32_e32 vcc, 31, v6
	v_cndmask_b32_e32 v5, v2, v5, vcc
	v_cmp_ne_u32_e32 vcc, 0, v0
	v_cndmask_b32_e64 v0, 0, 1, vcc
	v_lshl_or_b32 v0, v0, 9, v2
	v_cmp_eq_u32_e32 vcc, s11, v6
	v_cndmask_b32_e32 v0, v5, v0, vcc
	v_lshrrev_b32_e32 v1, 16, v1
	v_and_or_b32 v0, v1, s14, v0
	v_and_b32_e32 v1, 0xffff, v4
	v_lshl_or_b32 v4, v0, 16, v1
	v_add_co_u32_e32 v0, vcc, s6, v7
	v_addc_co_u32_e32 v1, vcc, v8, v3, vcc
	global_store_dword v[0:1], v4, off
	s_and_b64 exec, exec, s[0:1]
	s_cbranch_execz .LBB0_39
; %bb.38:
	global_load_dword v3, v[40:41], off offset:2688
	ds_read_b32 v4, v77 offset:2688
	ds_read_b32 v9, v77 offset:5488
	v_add_co_u32_e32 v7, vcc, s16, v40
	v_addc_co_u32_e32 v8, vcc, 0, v41, vcc
	s_waitcnt lgkmcnt(1)
	v_lshrrev_b32_e32 v5, 16, v4
	v_mov_b32_e32 v10, s5
	v_add_co_u32_e32 v0, vcc, s4, v0
	v_addc_co_u32_e32 v1, vcc, v1, v10, vcc
	s_waitcnt vmcnt(0)
	v_mul_f16_sdwa v6, v5, v3 dst_sel:DWORD dst_unused:UNUSED_PAD src0_sel:DWORD src1_sel:WORD_1
	v_fma_f16 v6, v4, v3, v6
	v_mul_f16_sdwa v4, v4, v3 dst_sel:DWORD dst_unused:UNUSED_PAD src0_sel:DWORD src1_sel:WORD_1
	v_cvt_f32_f16_e32 v6, v6
	v_fma_f16 v3, v3, v5, -v4
	v_cvt_f32_f16_e32 v5, v3
	v_cvt_f64_f32_e32 v[3:4], v6
	v_cvt_f64_f32_e32 v[5:6], v5
	v_mul_f64 v[3:4], v[3:4], s[12:13]
	v_mul_f64 v[5:6], v[5:6], s[12:13]
	v_and_or_b32 v3, v4, s15, v3
	v_cmp_ne_u32_e32 vcc, 0, v3
	v_and_or_b32 v5, v6, s15, v5
	v_lshrrev_b32_e32 v10, 8, v4
	v_bfe_u32 v11, v4, 20, 11
	v_cndmask_b32_e64 v3, 0, 1, vcc
	v_cmp_ne_u32_e32 vcc, 0, v5
	v_lshrrev_b32_e32 v12, 8, v6
	v_bfe_u32 v13, v6, 20, 11
	v_sub_u32_e32 v14, 0x3f1, v11
	v_cndmask_b32_e64 v5, 0, 1, vcc
	v_and_or_b32 v3, v10, s10, v3
	v_sub_u32_e32 v15, 0x3f1, v13
	v_med3_i32 v10, v14, 0, 13
	v_and_or_b32 v5, v12, s10, v5
	v_or_b32_e32 v14, 0x1000, v3
	v_add_u32_e32 v11, 0xfffffc10, v11
	v_med3_i32 v12, v15, 0, 13
	v_cmp_ne_u32_e32 vcc, 0, v3
	v_or_b32_e32 v16, 0x1000, v5
	v_lshrrev_b32_e32 v18, v10, v14
	v_add_u32_e32 v13, 0xfffffc10, v13
	v_lshl_or_b32 v15, v11, 12, v3
	v_cndmask_b32_e64 v3, 0, 1, vcc
	v_cmp_ne_u32_e32 vcc, 0, v5
	v_lshrrev_b32_e32 v19, v12, v16
	v_lshlrev_b32_e32 v10, v10, v18
	v_lshl_or_b32 v17, v13, 12, v5
	v_cndmask_b32_e64 v5, 0, 1, vcc
	v_lshlrev_b32_e32 v12, v12, v19
	v_cmp_ne_u32_e32 vcc, v10, v14
	v_cndmask_b32_e64 v10, 0, 1, vcc
	v_cmp_ne_u32_e32 vcc, v12, v16
	v_cndmask_b32_e64 v12, 0, 1, vcc
	v_or_b32_e32 v10, v18, v10
	v_cmp_gt_i32_e32 vcc, 1, v11
	v_cndmask_b32_e32 v10, v15, v10, vcc
	v_or_b32_e32 v12, v19, v12
	v_cmp_gt_i32_e32 vcc, 1, v13
	v_and_b32_e32 v14, 7, v10
	v_cndmask_b32_e32 v12, v17, v12, vcc
	v_cmp_lt_i32_e32 vcc, 5, v14
	v_cmp_eq_u32_e64 s[0:1], 3, v14
	v_lshrrev_b32_e32 v10, 2, v10
	v_and_b32_e32 v15, 7, v12
	s_or_b64 vcc, s[0:1], vcc
	v_cmp_lt_i32_e64 s[2:3], 5, v15
	v_cmp_eq_u32_e64 s[4:5], 3, v15
	v_addc_co_u32_e32 v10, vcc, 0, v10, vcc
	v_lshrrev_b32_e32 v12, 2, v12
	s_or_b64 vcc, s[4:5], s[2:3]
	v_addc_co_u32_e32 v12, vcc, 0, v12, vcc
	v_cmp_gt_i32_e32 vcc, 31, v11
	v_cndmask_b32_e32 v10, v2, v10, vcc
	v_cmp_gt_i32_e32 vcc, 31, v13
	v_lshl_or_b32 v3, v3, 9, v2
	v_cndmask_b32_e32 v12, v2, v12, vcc
	v_cmp_eq_u32_e32 vcc, s11, v11
	v_lshrrev_b32_e32 v4, 16, v4
	v_lshl_or_b32 v5, v5, 9, v2
	v_cndmask_b32_e32 v3, v10, v3, vcc
	v_cmp_eq_u32_e32 vcc, s11, v13
	v_lshrrev_b32_e32 v6, 16, v6
	v_cndmask_b32_e32 v5, v12, v5, vcc
	v_and_or_b32 v3, v4, s14, v3
	v_and_or_b32 v4, v6, s14, v5
	v_and_b32_e32 v3, 0xffff, v3
	v_lshl_or_b32 v3, v4, 16, v3
	global_store_dword v[0:1], v3, off
	global_load_dword v3, v[7:8], off offset:1392
	s_waitcnt lgkmcnt(0)
	v_lshrrev_b32_e32 v4, 16, v9
	v_mov_b32_e32 v7, s7
	s_waitcnt vmcnt(0)
	v_mul_f16_sdwa v5, v4, v3 dst_sel:DWORD dst_unused:UNUSED_PAD src0_sel:DWORD src1_sel:WORD_1
	v_fma_f16 v5, v9, v3, v5
	v_mul_f16_sdwa v6, v9, v3 dst_sel:DWORD dst_unused:UNUSED_PAD src0_sel:DWORD src1_sel:WORD_1
	v_cvt_f32_f16_e32 v5, v5
	v_fma_f16 v3, v3, v4, -v6
	v_cvt_f32_f16_e32 v6, v3
	v_cvt_f64_f32_e32 v[3:4], v5
	v_cvt_f64_f32_e32 v[5:6], v6
	v_mul_f64 v[3:4], v[3:4], s[12:13]
	v_mul_f64 v[5:6], v[5:6], s[12:13]
	v_and_or_b32 v3, v4, s15, v3
	v_cmp_ne_u32_e32 vcc, 0, v3
	v_and_or_b32 v5, v6, s15, v5
	v_lshrrev_b32_e32 v8, 8, v4
	v_bfe_u32 v9, v4, 20, 11
	v_cndmask_b32_e64 v3, 0, 1, vcc
	v_cmp_ne_u32_e32 vcc, 0, v5
	v_lshrrev_b32_e32 v10, 8, v6
	v_bfe_u32 v11, v6, 20, 11
	v_sub_u32_e32 v12, 0x3f1, v9
	v_cndmask_b32_e64 v5, 0, 1, vcc
	v_and_or_b32 v3, v8, s10, v3
	v_sub_u32_e32 v13, 0x3f1, v11
	v_med3_i32 v8, v12, 0, 13
	v_and_or_b32 v5, v10, s10, v5
	v_or_b32_e32 v12, 0x1000, v3
	v_add_u32_e32 v9, 0xfffffc10, v9
	v_med3_i32 v10, v13, 0, 13
	v_cmp_ne_u32_e32 vcc, 0, v3
	v_or_b32_e32 v14, 0x1000, v5
	v_lshrrev_b32_e32 v16, v8, v12
	v_add_u32_e32 v11, 0xfffffc10, v11
	v_lshl_or_b32 v13, v9, 12, v3
	v_cndmask_b32_e64 v3, 0, 1, vcc
	v_cmp_ne_u32_e32 vcc, 0, v5
	v_lshrrev_b32_e32 v17, v10, v14
	v_lshlrev_b32_e32 v8, v8, v16
	v_lshl_or_b32 v15, v11, 12, v5
	v_cndmask_b32_e64 v5, 0, 1, vcc
	v_lshlrev_b32_e32 v10, v10, v17
	v_cmp_ne_u32_e32 vcc, v8, v12
	v_cndmask_b32_e64 v8, 0, 1, vcc
	v_cmp_ne_u32_e32 vcc, v10, v14
	v_cndmask_b32_e64 v10, 0, 1, vcc
	v_or_b32_e32 v8, v16, v8
	v_cmp_gt_i32_e32 vcc, 1, v9
	v_cndmask_b32_e32 v8, v13, v8, vcc
	v_or_b32_e32 v10, v17, v10
	v_cmp_gt_i32_e32 vcc, 1, v11
	v_and_b32_e32 v12, 7, v8
	v_cndmask_b32_e32 v10, v15, v10, vcc
	v_cmp_lt_i32_e32 vcc, 5, v12
	v_cmp_eq_u32_e64 s[0:1], 3, v12
	v_lshrrev_b32_e32 v8, 2, v8
	v_and_b32_e32 v13, 7, v10
	s_or_b64 vcc, s[0:1], vcc
	v_cmp_lt_i32_e64 s[2:3], 5, v13
	v_cmp_eq_u32_e64 s[4:5], 3, v13
	v_addc_co_u32_e32 v8, vcc, 0, v8, vcc
	v_lshrrev_b32_e32 v10, 2, v10
	s_or_b64 vcc, s[4:5], s[2:3]
	v_addc_co_u32_e32 v10, vcc, 0, v10, vcc
	v_cmp_gt_i32_e32 vcc, 31, v9
	v_cndmask_b32_e32 v8, v2, v8, vcc
	v_cmp_gt_i32_e32 vcc, 31, v11
	v_lshl_or_b32 v3, v3, 9, v2
	v_lshl_or_b32 v5, v5, 9, v2
	v_cndmask_b32_e32 v2, v2, v10, vcc
	v_cmp_eq_u32_e32 vcc, s11, v9
	v_lshrrev_b32_e32 v4, 16, v4
	v_cndmask_b32_e32 v3, v8, v3, vcc
	v_cmp_eq_u32_e32 vcc, s11, v11
	v_lshrrev_b32_e32 v6, 16, v6
	v_cndmask_b32_e32 v2, v2, v5, vcc
	v_and_or_b32 v3, v4, s14, v3
	v_and_or_b32 v2, v6, s14, v2
	v_and_b32_e32 v3, 0xffff, v3
	v_add_co_u32_e32 v0, vcc, s6, v0
	v_lshl_or_b32 v2, v2, 16, v3
	v_addc_co_u32_e32 v1, vcc, v1, v7, vcc
	global_store_dword v[0:1], v2, off
.LBB0_39:
	s_endpgm
	.section	.rodata,"a",@progbits
	.p2align	6, 0x0
	.amdhsa_kernel bluestein_single_back_len1400_dim1_half_op_CI_CI
		.amdhsa_group_segment_fixed_size 5600
		.amdhsa_private_segment_fixed_size 0
		.amdhsa_kernarg_size 104
		.amdhsa_user_sgpr_count 6
		.amdhsa_user_sgpr_private_segment_buffer 1
		.amdhsa_user_sgpr_dispatch_ptr 0
		.amdhsa_user_sgpr_queue_ptr 0
		.amdhsa_user_sgpr_kernarg_segment_ptr 1
		.amdhsa_user_sgpr_dispatch_id 0
		.amdhsa_user_sgpr_flat_scratch_init 0
		.amdhsa_user_sgpr_private_segment_size 0
		.amdhsa_uses_dynamic_stack 0
		.amdhsa_system_sgpr_private_segment_wavefront_offset 0
		.amdhsa_system_sgpr_workgroup_id_x 1
		.amdhsa_system_sgpr_workgroup_id_y 0
		.amdhsa_system_sgpr_workgroup_id_z 0
		.amdhsa_system_sgpr_workgroup_info 0
		.amdhsa_system_vgpr_workitem_id 0
		.amdhsa_next_free_vgpr 204
		.amdhsa_next_free_sgpr 22
		.amdhsa_reserve_vcc 1
		.amdhsa_reserve_flat_scratch 0
		.amdhsa_float_round_mode_32 0
		.amdhsa_float_round_mode_16_64 0
		.amdhsa_float_denorm_mode_32 3
		.amdhsa_float_denorm_mode_16_64 3
		.amdhsa_dx10_clamp 1
		.amdhsa_ieee_mode 1
		.amdhsa_fp16_overflow 0
		.amdhsa_exception_fp_ieee_invalid_op 0
		.amdhsa_exception_fp_denorm_src 0
		.amdhsa_exception_fp_ieee_div_zero 0
		.amdhsa_exception_fp_ieee_overflow 0
		.amdhsa_exception_fp_ieee_underflow 0
		.amdhsa_exception_fp_ieee_inexact 0
		.amdhsa_exception_int_div_zero 0
	.end_amdhsa_kernel
	.text
.Lfunc_end0:
	.size	bluestein_single_back_len1400_dim1_half_op_CI_CI, .Lfunc_end0-bluestein_single_back_len1400_dim1_half_op_CI_CI
                                        ; -- End function
	.section	.AMDGPU.csdata,"",@progbits
; Kernel info:
; codeLenInByte = 43232
; NumSgprs: 26
; NumVgprs: 204
; ScratchSize: 0
; MemoryBound: 0
; FloatMode: 240
; IeeeMode: 1
; LDSByteSize: 5600 bytes/workgroup (compile time only)
; SGPRBlocks: 3
; VGPRBlocks: 50
; NumSGPRsForWavesPerEU: 26
; NumVGPRsForWavesPerEU: 204
; Occupancy: 1
; WaveLimiterHint : 1
; COMPUTE_PGM_RSRC2:SCRATCH_EN: 0
; COMPUTE_PGM_RSRC2:USER_SGPR: 6
; COMPUTE_PGM_RSRC2:TRAP_HANDLER: 0
; COMPUTE_PGM_RSRC2:TGID_X_EN: 1
; COMPUTE_PGM_RSRC2:TGID_Y_EN: 0
; COMPUTE_PGM_RSRC2:TGID_Z_EN: 0
; COMPUTE_PGM_RSRC2:TIDIG_COMP_CNT: 0
	.type	__hip_cuid_750822958aaefb76,@object ; @__hip_cuid_750822958aaefb76
	.section	.bss,"aw",@nobits
	.globl	__hip_cuid_750822958aaefb76
__hip_cuid_750822958aaefb76:
	.byte	0                               ; 0x0
	.size	__hip_cuid_750822958aaefb76, 1

	.ident	"AMD clang version 19.0.0git (https://github.com/RadeonOpenCompute/llvm-project roc-6.4.0 25133 c7fe45cf4b819c5991fe208aaa96edf142730f1d)"
	.section	".note.GNU-stack","",@progbits
	.addrsig
	.addrsig_sym __hip_cuid_750822958aaefb76
	.amdgpu_metadata
---
amdhsa.kernels:
  - .args:
      - .actual_access:  read_only
        .address_space:  global
        .offset:         0
        .size:           8
        .value_kind:     global_buffer
      - .actual_access:  read_only
        .address_space:  global
        .offset:         8
        .size:           8
        .value_kind:     global_buffer
      - .actual_access:  read_only
        .address_space:  global
        .offset:         16
        .size:           8
        .value_kind:     global_buffer
      - .actual_access:  read_only
        .address_space:  global
        .offset:         24
        .size:           8
        .value_kind:     global_buffer
      - .actual_access:  read_only
        .address_space:  global
        .offset:         32
        .size:           8
        .value_kind:     global_buffer
      - .offset:         40
        .size:           8
        .value_kind:     by_value
      - .address_space:  global
        .offset:         48
        .size:           8
        .value_kind:     global_buffer
      - .address_space:  global
        .offset:         56
        .size:           8
        .value_kind:     global_buffer
      - .address_space:  global
        .offset:         64
        .size:           8
        .value_kind:     global_buffer
      - .address_space:  global
        .offset:         72
        .size:           8
        .value_kind:     global_buffer
      - .offset:         80
        .size:           4
        .value_kind:     by_value
      - .address_space:  global
        .offset:         88
        .size:           8
        .value_kind:     global_buffer
      - .address_space:  global
        .offset:         96
        .size:           8
        .value_kind:     global_buffer
    .group_segment_fixed_size: 5600
    .kernarg_segment_align: 8
    .kernarg_segment_size: 104
    .language:       OpenCL C
    .language_version:
      - 2
      - 0
    .max_flat_workgroup_size: 56
    .name:           bluestein_single_back_len1400_dim1_half_op_CI_CI
    .private_segment_fixed_size: 0
    .sgpr_count:     26
    .sgpr_spill_count: 0
    .symbol:         bluestein_single_back_len1400_dim1_half_op_CI_CI.kd
    .uniform_work_group_size: 1
    .uses_dynamic_stack: false
    .vgpr_count:     204
    .vgpr_spill_count: 0
    .wavefront_size: 64
amdhsa.target:   amdgcn-amd-amdhsa--gfx906
amdhsa.version:
  - 1
  - 2
...

	.end_amdgpu_metadata
